;; amdgpu-corpus repo=ROCm/rocFFT kind=compiled arch=gfx1030 opt=O3
	.text
	.amdgcn_target "amdgcn-amd-amdhsa--gfx1030"
	.amdhsa_code_object_version 6
	.protected	bluestein_single_fwd_len1287_dim1_half_op_CI_CI ; -- Begin function bluestein_single_fwd_len1287_dim1_half_op_CI_CI
	.globl	bluestein_single_fwd_len1287_dim1_half_op_CI_CI
	.p2align	8
	.type	bluestein_single_fwd_len1287_dim1_half_op_CI_CI,@function
bluestein_single_fwd_len1287_dim1_half_op_CI_CI: ; @bluestein_single_fwd_len1287_dim1_half_op_CI_CI
; %bb.0:
	s_load_dwordx4 s[8:11], s[4:5], 0x28
	v_mul_u32_u24_e32 v1, 0x231, v0
	v_mov_b32_e32 v27, 0
	s_mov_b32 s0, exec_lo
	v_lshrrev_b32_e32 v1, 16, v1
	v_add_nc_u32_e32 v26, s6, v1
	s_waitcnt lgkmcnt(0)
	v_cmpx_gt_u64_e64 s[8:9], v[26:27]
	s_cbranch_execz .LBB0_31
; %bb.1:
	s_load_dwordx4 s[0:3], s[4:5], 0x18
	v_mul_lo_u16 v1, 0x75, v1
	v_sub_nc_u16 v7, v0, v1
	v_and_b32_e32 v56, 0xffff, v7
	v_lshlrev_b32_e32 v49, 2, v56
	s_waitcnt lgkmcnt(0)
	s_load_dwordx4 s[12:15], s[0:1], 0x0
	s_load_dwordx2 s[0:1], s[4:5], 0x0
	s_waitcnt lgkmcnt(0)
	s_clause 0x1
	global_load_dword v59, v49, s[0:1]
	global_load_dword v55, v49, s[0:1] offset:468
	v_mad_u64_u32 v[0:1], null, s14, v26, 0
	v_mad_u64_u32 v[2:3], null, s12, v56, 0
	v_add_co_u32 v22, s6, s0, v49
	v_add_co_ci_u32_e64 v23, null, s1, 0, s6
	s_mul_hi_u32 s6, s12, 0x1ad
	v_add_co_u32 v20, vcc_lo, 0x800, v22
	v_mad_u64_u32 v[4:5], null, s15, v26, v[1:2]
	v_add_co_ci_u32_e32 v21, vcc_lo, 0, v23, vcc_lo
	s_clause 0x2
	global_load_dword v58, v49, s[0:1] offset:1716
	global_load_dword v52, v49, s[0:1] offset:936
	global_load_dword v54, v[20:21], off offset:136
	s_mul_i32 s1, s13, 0x1ad
	s_mul_i32 s0, s12, 0x1ad
	v_mad_u64_u32 v[5:6], null, s13, v56, v[3:4]
	v_mov_b32_e32 v1, v4
	s_add_i32 s1, s6, s1
	s_mul_hi_u32 s8, s12, 0xfffffd1b
	s_lshl_b64 s[14:15], s[0:1], 2
	s_mul_i32 s7, s13, 0xfffffd1b
	v_lshlrev_b64 v[0:1], 2, v[0:1]
	v_mov_b32_e32 v3, v5
	s_sub_i32 s1, s8, s12
	s_clause 0x1
	global_load_dword v57, v[20:21], off offset:1384
	global_load_dword v53, v[20:21], off offset:1852
	s_mul_i32 s0, s12, 0xfffffd1b
	s_add_i32 s1, s1, s7
	v_lshlrev_b64 v[2:3], 2, v[2:3]
	v_add_co_u32 v0, vcc_lo, s10, v0
	v_add_co_ci_u32_e32 v1, vcc_lo, s11, v1, vcc_lo
	s_lshl_b64 s[0:1], s[0:1], 2
	v_add_co_u32 v0, vcc_lo, v0, v2
	v_add_co_ci_u32_e32 v1, vcc_lo, v1, v3, vcc_lo
	v_add_co_u32 v2, vcc_lo, v0, s14
	v_add_co_ci_u32_e32 v3, vcc_lo, s15, v1, vcc_lo
	s_clause 0x1
	global_load_dword v4, v[0:1], off
	global_load_dword v5, v[2:3], off
	v_add_co_u32 v0, vcc_lo, v2, s14
	v_add_co_ci_u32_e32 v1, vcc_lo, s15, v3, vcc_lo
	v_add_co_u32 v2, vcc_lo, v0, s0
	v_add_co_ci_u32_e32 v3, vcc_lo, s1, v1, vcc_lo
	s_clause 0x1
	global_load_dword v6, v[0:1], off
	global_load_dword v8, v[2:3], off
	v_add_co_u32 v0, vcc_lo, v2, s14
	v_add_co_ci_u32_e32 v1, vcc_lo, s15, v3, vcc_lo
	v_add_co_u32 v2, vcc_lo, v0, s14
	v_add_co_ci_u32_e32 v3, vcc_lo, s15, v1, vcc_lo
	global_load_dword v9, v[0:1], off
	v_add_co_u32 v0, vcc_lo, v2, s0
	v_add_co_ci_u32_e32 v1, vcc_lo, s1, v3, vcc_lo
	global_load_dword v10, v[2:3], off
	;; [unrolled: 3-line block ×3, first 2 shown]
	v_add_co_u32 v0, vcc_lo, v2, s14
	v_add_co_ci_u32_e32 v1, vcc_lo, s15, v3, vcc_lo
	v_add_co_u32 v24, vcc_lo, 0x1000, v22
	v_add_co_ci_u32_e32 v25, vcc_lo, 0, v23, vcc_lo
	global_load_dword v3, v[2:3], off
	global_load_dword v12, v[0:1], off
	s_clause 0x1
	global_load_dword v50, v[24:25], off offset:272
	global_load_dword v51, v[20:21], off offset:604
	s_load_dwordx2 s[6:7], s[4:5], 0x38
	s_load_dwordx4 s[8:11], s[2:3], 0x0
	v_add_nc_u32_e32 v2, 0x800, v49
	v_cmp_gt_u16_e32 vcc_lo, 0x4e, v7
	s_waitcnt vmcnt(10)
	v_lshrrev_b32_e32 v13, 16, v4
	v_mul_f16_sdwa v14, v59, v4 dst_sel:DWORD dst_unused:UNUSED_PAD src0_sel:WORD_1 src1_sel:DWORD
	s_waitcnt vmcnt(9)
	v_lshrrev_b32_e32 v16, 16, v5
	v_mul_f16_sdwa v17, v58, v5 dst_sel:DWORD dst_unused:UNUSED_PAD src0_sel:WORD_1 src1_sel:DWORD
	v_mul_f16_sdwa v15, v59, v13 dst_sel:DWORD dst_unused:UNUSED_PAD src0_sel:WORD_1 src1_sel:DWORD
	v_fma_f16 v13, v59, v13, -v14
	v_fmac_f16_e32 v15, v59, v4
	v_mul_f16_sdwa v4, v58, v16 dst_sel:DWORD dst_unused:UNUSED_PAD src0_sel:WORD_1 src1_sel:DWORD
	v_fma_f16 v16, v58, v16, -v17
	s_waitcnt vmcnt(8)
	v_lshrrev_b32_e32 v14, 16, v6
	v_mul_f16_sdwa v17, v57, v6 dst_sel:DWORD dst_unused:UNUSED_PAD src0_sel:WORD_1 src1_sel:DWORD
	v_pack_b32_f16 v13, v15, v13
	v_fmac_f16_e32 v4, v58, v5
	s_waitcnt vmcnt(7)
	v_lshrrev_b32_e32 v15, 16, v8
	v_mul_f16_sdwa v5, v57, v14 dst_sel:DWORD dst_unused:UNUSED_PAD src0_sel:WORD_1 src1_sel:DWORD
	v_mul_f16_sdwa v18, v55, v8 dst_sel:DWORD dst_unused:UNUSED_PAD src0_sel:WORD_1 src1_sel:DWORD
	v_fma_f16 v14, v57, v14, -v17
	v_pack_b32_f16 v4, v4, v16
	v_fmac_f16_e32 v5, v57, v6
	v_mul_f16_sdwa v6, v55, v15 dst_sel:DWORD dst_unused:UNUSED_PAD src0_sel:WORD_1 src1_sel:DWORD
	v_fma_f16 v15, v55, v15, -v18
	s_waitcnt vmcnt(6)
	v_lshrrev_b32_e32 v16, 16, v9
	ds_write_b32 v49, v4 offset:1716
	v_pack_b32_f16 v4, v5, v14
	v_fmac_f16_e32 v6, v55, v8
	v_mul_f16_sdwa v17, v54, v9 dst_sel:DWORD dst_unused:UNUSED_PAD src0_sel:WORD_1 src1_sel:DWORD
	s_waitcnt vmcnt(5)
	v_lshrrev_b32_e32 v8, 16, v10
	v_mul_f16_sdwa v5, v54, v16 dst_sel:DWORD dst_unused:UNUSED_PAD src0_sel:WORD_1 src1_sel:DWORD
	ds_write_b32 v49, v4 offset:3432
	v_pack_b32_f16 v4, v6, v15
	v_fma_f16 v14, v54, v16, -v17
	v_mul_f16_sdwa v6, v53, v8 dst_sel:DWORD dst_unused:UNUSED_PAD src0_sel:WORD_1 src1_sel:DWORD
	v_mul_f16_sdwa v16, v53, v10 dst_sel:DWORD dst_unused:UNUSED_PAD src0_sel:WORD_1 src1_sel:DWORD
	v_fmac_f16_e32 v5, v54, v9
	s_waitcnt vmcnt(4)
	v_lshrrev_b32_e32 v9, 16, v11
	v_mul_f16_sdwa v15, v52, v11 dst_sel:DWORD dst_unused:UNUSED_PAD src0_sel:WORD_1 src1_sel:DWORD
	v_fmac_f16_e32 v6, v53, v10
	v_fma_f16 v8, v53, v8, -v16
	s_waitcnt vmcnt(3)
	v_lshrrev_b32_e32 v10, 16, v3
	s_waitcnt vmcnt(2)
	v_lshrrev_b32_e32 v17, 16, v12
	v_mul_f16_sdwa v16, v52, v9 dst_sel:DWORD dst_unused:UNUSED_PAD src0_sel:WORD_1 src1_sel:DWORD
	v_fma_f16 v9, v52, v9, -v15
	s_waitcnt vmcnt(0)
	v_mul_f16_sdwa v15, v51, v3 dst_sel:DWORD dst_unused:UNUSED_PAD src0_sel:WORD_1 src1_sel:DWORD
	v_mul_f16_sdwa v18, v51, v10 dst_sel:DWORD dst_unused:UNUSED_PAD src0_sel:WORD_1 src1_sel:DWORD
	;; [unrolled: 1-line block ×4, first 2 shown]
	v_fmac_f16_e32 v16, v52, v11
	v_fma_f16 v10, v51, v10, -v15
	v_fmac_f16_e32 v18, v51, v3
	v_fma_f16 v3, v50, v17, -v19
	v_fmac_f16_e32 v27, v50, v12
	v_pack_b32_f16 v6, v6, v8
	v_pack_b32_f16 v8, v16, v9
	v_pack_b32_f16 v5, v5, v14
	v_pack_b32_f16 v9, v18, v10
	v_pack_b32_f16 v3, v27, v3
	v_add_nc_u32_e32 v10, 0xe00, v49
	ds_write2_b32 v49, v13, v4 offset1:117
	ds_write_b32 v49, v8 offset:936
	ds_write2_b32 v2, v5, v9 offset0:34 offset1:151
	ds_write2_b32 v10, v6, v3 offset0:79 offset1:196
	s_and_saveexec_b32 s2, vcc_lo
	s_cbranch_execz .LBB0_3
; %bb.2:
	v_add_co_u32 v0, s0, v0, s0
	v_add_co_ci_u32_e64 v1, s0, s1, v1, s0
	v_add_co_u32 v3, s0, v0, s14
	v_add_co_ci_u32_e64 v4, s0, s15, v1, s0
	;; [unrolled: 2-line block ×3, first 2 shown]
	global_load_dword v0, v[0:1], off
	global_load_dword v1, v[22:23], off offset:1404
	global_load_dword v3, v[3:4], off
	global_load_dword v4, v[5:6], off
	s_clause 0x1
	global_load_dword v5, v[20:21], off offset:1072
	global_load_dword v6, v[24:25], off offset:740
	s_waitcnt vmcnt(5)
	v_lshrrev_b32_e32 v7, 16, v0
	s_waitcnt vmcnt(4)
	v_mul_f16_sdwa v8, v1, v0 dst_sel:DWORD dst_unused:UNUSED_PAD src0_sel:WORD_1 src1_sel:DWORD
	s_waitcnt vmcnt(3)
	v_lshrrev_b32_e32 v9, 16, v3
	s_waitcnt vmcnt(2)
	v_lshrrev_b32_e32 v10, 16, v4
	v_mul_f16_sdwa v11, v1, v7 dst_sel:DWORD dst_unused:UNUSED_PAD src0_sel:WORD_1 src1_sel:DWORD
	v_fma_f16 v7, v1, v7, -v8
	s_waitcnt vmcnt(1)
	v_mul_f16_sdwa v8, v5, v3 dst_sel:DWORD dst_unused:UNUSED_PAD src0_sel:WORD_1 src1_sel:DWORD
	v_mul_f16_sdwa v12, v5, v9 dst_sel:DWORD dst_unused:UNUSED_PAD src0_sel:WORD_1 src1_sel:DWORD
	s_waitcnt vmcnt(0)
	v_mul_f16_sdwa v13, v6, v10 dst_sel:DWORD dst_unused:UNUSED_PAD src0_sel:WORD_1 src1_sel:DWORD
	v_mul_f16_sdwa v14, v6, v4 dst_sel:DWORD dst_unused:UNUSED_PAD src0_sel:WORD_1 src1_sel:DWORD
	v_fmac_f16_e32 v11, v1, v0
	v_fma_f16 v0, v5, v9, -v8
	v_fmac_f16_e32 v12, v5, v3
	v_fmac_f16_e32 v13, v6, v4
	v_fma_f16 v1, v6, v10, -v14
	v_pack_b32_f16 v3, v11, v7
	v_pack_b32_f16 v0, v12, v0
	;; [unrolled: 1-line block ×3, first 2 shown]
	ds_write_b32 v49, v3 offset:1404
	ds_write_b32 v49, v0 offset:3120
	;; [unrolled: 1-line block ×3, first 2 shown]
.LBB0_3:
	s_or_b32 exec_lo, exec_lo, s2
	v_add_nc_u32_e32 v0, 0x300, v49
	v_add_nc_u32_e32 v3, 0xc00, v49
	s_waitcnt lgkmcnt(0)
	s_barrier
	buffer_gl0_inv
	ds_read2_b32 v[6:7], v49 offset1:117
	ds_read2_b32 v[0:1], v0 offset0:42 offset1:237
	ds_read2_b32 v[4:5], v3 offset0:90 offset1:207
	;; [unrolled: 1-line block ×3, first 2 shown]
	ds_read_b32 v9, v49 offset:4368
                                        ; implicit-def: $vgpr8
                                        ; implicit-def: $vgpr11
                                        ; implicit-def: $vgpr10
	s_and_saveexec_b32 s0, vcc_lo
	s_cbranch_execz .LBB0_5
; %bb.4:
	ds_read_b32 v8, v49 offset:1404
	ds_read_b32 v11, v49 offset:3120
	;; [unrolled: 1-line block ×3, first 2 shown]
.LBB0_5:
	s_or_b32 exec_lo, exec_lo, s0
	v_add_co_u32 v31, s0, 0x75, v56
	v_add_co_ci_u32_e64 v12, null, 0, 0, s0
	v_add_co_u32 v32, s0, 0xea, v56
	v_add_co_ci_u32_e64 v12, null, 0, 0, s0
	s_waitcnt lgkmcnt(2)
	v_pk_add_f16 v12, v1, v4
	v_pk_add_f16 v13, v1, v4 neg_lo:[0,1] neg_hi:[0,1]
	v_pk_add_f16 v1, v6, v1
	s_waitcnt lgkmcnt(1)
	v_pk_add_f16 v14, v2, v5
	v_pk_add_f16 v15, v2, v5 neg_lo:[0,1] neg_hi:[0,1]
	v_pk_fma_f16 v6, v12, 0.5, v6 op_sel_hi:[1,0,1] neg_lo:[1,0,0] neg_hi:[1,0,0]
	v_pk_mul_f16 v16, 0x3aee, v13 op_sel_hi:[0,1]
	v_pk_add_f16 v12, v1, v4
	v_pk_add_f16 v1, v7, v2
	v_pk_fma_f16 v2, v14, 0.5, v7 op_sel_hi:[1,0,1] neg_lo:[1,0,0] neg_hi:[1,0,0]
	v_pk_mul_f16 v4, 0x3aee, v15 op_sel_hi:[0,1]
	v_pk_add_f16 v13, v6, v16 op_sel:[0,1] op_sel_hi:[1,0]
	v_pk_add_f16 v37, v6, v16 op_sel:[0,1] op_sel_hi:[1,0] neg_lo:[0,1] neg_hi:[0,1]
	s_waitcnt lgkmcnt(0)
	v_pk_add_f16 v6, v3, v9
	v_pk_add_f16 v15, v1, v5
	;; [unrolled: 1-line block ×3, first 2 shown]
	s_load_dwordx2 s[2:3], s[4:5], 0x8
	v_pk_add_f16 v16, v2, v4 op_sel:[0,1] op_sel_hi:[1,0]
	v_pk_add_f16 v38, v2, v4 op_sel:[0,1] op_sel_hi:[1,0] neg_lo:[0,1] neg_hi:[0,1]
	v_pk_add_f16 v2, v3, v9 neg_lo:[0,1] neg_hi:[0,1]
	v_pk_add_f16 v3, v11, v10
	v_pk_add_f16 v4, v11, v10 neg_lo:[0,1] neg_hi:[0,1]
	v_pk_fma_f16 v0, v6, 0.5, v0 op_sel_hi:[1,0,1] neg_lo:[1,0,0] neg_hi:[1,0,0]
	v_pk_add_f16 v18, v1, v9
	v_pk_add_f16 v1, v8, v11
	v_pk_fma_f16 v3, v3, 0.5, v8 op_sel_hi:[1,0,1] neg_lo:[1,0,0] neg_hi:[1,0,0]
	v_pk_mul_f16 v4, 0x3aee, v4 op_sel_hi:[0,1]
	v_pk_fma_f16 v39, 0x3aee, v2, v0 op_sel:[0,0,1] op_sel_hi:[0,1,0]
	v_pk_fma_f16 v40, 0x3aee, v2, v0 op_sel:[0,0,1] op_sel_hi:[0,1,0] neg_lo:[0,1,0] neg_hi:[0,1,0]
	v_pk_add_f16 v28, v1, v10
	v_mul_lo_u16 v0, v56, 3
	v_mov_b32_e32 v1, 2
	v_add_co_u32 v33, null, 0x15f, v56
	v_pk_add_f16 v30, v3, v4 op_sel:[0,1] op_sel_hi:[1,0] neg_lo:[0,1] neg_hi:[0,1]
	v_pk_add_f16 v41, v3, v4 op_sel:[0,1] op_sel_hi:[1,0]
	v_mul_u32_u24_e32 v2, 3, v31
	v_mul_u32_u24_e32 v3, 3, v32
	v_lshlrev_b32_sdwa v62, v1, v0 dst_sel:DWORD dst_unused:UNUSED_PAD src0_sel:DWORD src1_sel:WORD_0
	v_bfi_b32 v0, 0xffff, v37, v13
	v_bfi_b32 v1, 0xffff, v13, v37
	v_lshlrev_b32_e32 v64, 2, v2
	v_lshlrev_b32_e32 v65, 2, v3
	v_mul_u32_u24_e32 v63, 3, v33
	s_waitcnt lgkmcnt(0)
	s_barrier
	buffer_gl0_inv
	ds_write2_b32 v62, v1, v0 offset0:1 offset1:2
	v_bfi_b32 v0, 0xffff, v38, v16
	v_bfi_b32 v1, 0xffff, v16, v38
	v_alignbit_b32 v2, v39, v40, 16
	v_alignbit_b32 v3, v40, v39, 16
	ds_write_b32 v62, v12
	ds_write_b32 v64, v15
	ds_write2_b32 v64, v1, v0 offset0:1 offset1:2
	ds_write_b32 v65, v18
	ds_write2_b32 v65, v3, v2 offset0:1 offset1:2
	s_and_saveexec_b32 s0, vcc_lo
	s_cbranch_execz .LBB0_7
; %bb.6:
	v_lshlrev_b32_e32 v0, 2, v63
	v_bfi_b32 v1, 0xffff, v30, v41
	v_bfi_b32 v2, 0xffff, v41, v30
	ds_write_b32 v0, v28
	ds_write2_b32 v0, v2, v1 offset0:1 offset1:2
.LBB0_7:
	s_or_b32 exec_lo, exec_lo, s0
	v_lshrrev_b32_e32 v67, 16, v13
	v_lshrrev_b32_e32 v66, 16, v16
	;; [unrolled: 1-line block ×3, first 2 shown]
	v_cmp_gt_u16_e64 s0, 0x63, v56
	v_lshrrev_b32_e32 v70, 16, v30
	s_waitcnt lgkmcnt(0)
	s_barrier
	buffer_gl0_inv
                                        ; implicit-def: $vgpr42
                                        ; implicit-def: $vgpr71
	s_and_saveexec_b32 s1, s0
	s_cbranch_execz .LBB0_9
; %bb.8:
	v_add_nc_u32_e32 v0, 0x200, v49
	v_add_nc_u32_e32 v1, 0x400, v49
	;; [unrolled: 1-line block ×4, first 2 shown]
	ds_read_b32 v42, v49 offset:4752
	ds_read2_b32 v[14:15], v0 offset0:70 offset1:169
	v_add_nc_u32_e32 v0, 0x800, v49
	ds_read2_b32 v[16:17], v1 offset0:140 offset1:239
	ds_read2_b32 v[27:28], v2 offset0:24 offset1:123
	;; [unrolled: 1-line block ×4, first 2 shown]
	ds_read2_b32 v[12:13], v49 offset1:99
	s_waitcnt lgkmcnt(4)
	v_lshrrev_b32_e32 v66, 16, v17
	v_lshrrev_b32_e32 v71, 16, v42
	;; [unrolled: 1-line block ×3, first 2 shown]
	s_waitcnt lgkmcnt(3)
	v_lshrrev_b32_e32 v39, 16, v27
	s_waitcnt lgkmcnt(2)
	v_lshrrev_b32_e32 v70, 16, v29
	v_bfi_b32 v41, 0xffff, v29, v30
	s_waitcnt lgkmcnt(1)
	v_alignbit_b32 v40, v27, v19, 16
	v_bfi_b32 v38, 0xffff, v17, v16
	s_waitcnt lgkmcnt(0)
	v_bfi_b32 v37, 0xffff, v14, v13
.LBB0_9:
	s_or_b32 exec_lo, exec_lo, s1
	v_and_b32_e32 v27, 0xff, v56
	v_lshrrev_b32_e32 v68, 16, v37
	v_lshrrev_b32_e32 v69, 16, v15
	;; [unrolled: 1-line block ×4, first 2 shown]
	v_mul_lo_u16 v0, 0xab, v27
	v_lshrrev_b32_e32 v80, 16, v28
	v_lshrrev_b32_e32 v77, 16, v18
	v_lshrrev_b32_e32 v79, 16, v40
	v_lshrrev_b16 v61, 9, v0
	v_mul_lo_u16 v0, v61, 3
	v_sub_nc_u16 v0, v56, v0
	v_and_b32_e32 v60, 0xff, v0
	v_mul_u32_u24_e32 v0, 12, v60
	v_lshlrev_b32_e32 v0, 2, v0
	s_clause 0x2
	global_load_dwordx4 v[4:7], v0, s[2:3]
	global_load_dwordx4 v[8:11], v0, s[2:3] offset:16
	global_load_dwordx4 v[0:3], v0, s[2:3] offset:32
	s_waitcnt vmcnt(0)
	s_barrier
	buffer_gl0_inv
	v_mul_f16_sdwa v74, v68, v4 dst_sel:DWORD dst_unused:UNUSED_PAD src0_sel:DWORD src1_sel:WORD_1
	v_mul_f16_sdwa v48, v13, v4 dst_sel:DWORD dst_unused:UNUSED_PAD src0_sel:DWORD src1_sel:WORD_1
	;; [unrolled: 1-line block ×13, first 2 shown]
	v_fma_f16 v75, v15, v6, -v73
	v_fma_f16 v73, v16, v7, -v78
	v_fmac_f16_e32 v48, v68, v4
	v_fma_f16 v78, v13, v4, -v74
	v_fmac_f16_e32 v14, v71, v3
	v_fma_f16 v16, v42, v3, -v89
	v_mul_f16_sdwa v44, v38, v8 dst_sel:DWORD dst_unused:UNUSED_PAD src0_sel:DWORD src1_sel:WORD_1
	v_mul_f16_sdwa v36, v19, v10 dst_sel:DWORD dst_unused:UNUSED_PAD src0_sel:DWORD src1_sel:WORD_1
	;; [unrolled: 1-line block ×5, first 2 shown]
	v_fma_f16 v76, v37, v5, -v76
	v_fmac_f16_e32 v47, v67, v5
	v_fmac_f16_e32 v46, v69, v6
	v_fma_f16 v69, v19, v10, -v84
	v_fma_f16 v19, v30, v2, -v88
	v_fmac_f16_e32 v17, v81, v2
	v_sub_f16_e32 v91, v48, v14
	v_sub_f16_e32 v98, v78, v16
	v_mul_f16_sdwa v82, v66, v8 dst_sel:DWORD dst_unused:UNUSED_PAD src0_sel:DWORD src1_sel:WORD_1
	v_mul_f16_sdwa v83, v77, v9 dst_sel:DWORD dst_unused:UNUSED_PAD src0_sel:DWORD src1_sel:WORD_1
	;; [unrolled: 1-line block ×4, first 2 shown]
	v_fmac_f16_e32 v44, v66, v8
	v_fma_f16 v67, v28, v0, -v86
	v_fma_f16 v66, v41, v1, -v87
	v_fmac_f16_e32 v29, v70, v1
	v_add_f16_e32 v13, v78, v16
	v_add_f16_e32 v15, v48, v14
	v_sub_f16_e32 v97, v47, v17
	v_sub_f16_e32 v101, v76, v19
	v_mul_f16_e32 v86, 0xb770, v91
	v_mul_f16_e32 v99, 0xb770, v98
	;; [unrolled: 1-line block ×8, first 2 shown]
	v_mul_f16_sdwa v43, v18, v9 dst_sel:DWORD dst_unused:UNUSED_PAD src0_sel:DWORD src1_sel:WORD_1
	v_mul_f16_sdwa v35, v79, v11 dst_sel:DWORD dst_unused:UNUSED_PAD src0_sel:DWORD src1_sel:WORD_1
	v_fmac_f16_e32 v45, v72, v7
	v_fma_f16 v74, v38, v8, -v82
	v_fma_f16 v72, v18, v9, -v83
	;; [unrolled: 1-line block ×3, first 2 shown]
	v_fmac_f16_e32 v34, v80, v0
	v_add_f16_e32 v18, v76, v19
	v_add_f16_e32 v28, v47, v17
	v_sub_f16_e32 v107, v46, v29
	v_sub_f16_e32 v122, v75, v66
	v_mul_f16_e32 v85, 0xba95, v97
	v_mul_f16_e32 v94, 0xba95, v101
	;; [unrolled: 1-line block ×8, first 2 shown]
	v_fmamk_f16 v37, v13, 0x3b15, v86
	v_fma_f16 v38, v15, 0x3b15, -v99
	v_fmamk_f16 v41, v13, 0x388b, v103
	v_fma_f16 v70, v15, 0x388b, -v112
	;; [unrolled: 2-line block ×4, first 2 shown]
	v_fmac_f16_e32 v43, v77, v9
	v_fmac_f16_e32 v36, v40, v10
	;; [unrolled: 1-line block ×3, first 2 shown]
	v_add_f16_e32 v30, v75, v66
	v_add_f16_e32 v77, v46, v29
	v_sub_f16_e32 v118, v45, v34
	v_sub_f16_e32 v128, v73, v67
	v_mul_f16_e32 v88, 0xbbf1, v107
	v_mul_f16_e32 v92, 0xbbf1, v122
	;; [unrolled: 1-line block ×8, first 2 shown]
	v_fmamk_f16 v39, v18, 0x388b, v85
	v_fma_f16 v40, v28, 0x388b, -v94
	v_fmamk_f16 v42, v18, 0xb5ac, v102
	v_fma_f16 v71, v28, 0xb5ac, -v110
	;; [unrolled: 2-line block ×4, first 2 shown]
	v_add_f16_e32 v37, v12, v37
	v_add_f16_sdwa v38, v12, v38 dst_sel:DWORD dst_unused:UNUSED_PAD src0_sel:WORD_1 src1_sel:DWORD
	v_add_f16_e32 v41, v12, v41
	v_add_f16_sdwa v70, v12, v70 dst_sel:DWORD dst_unused:UNUSED_PAD src0_sel:WORD_1 src1_sel:DWORD
	;; [unrolled: 2-line block ×4, first 2 shown]
	v_add_f16_e32 v79, v73, v67
	v_add_f16_e32 v80, v45, v34
	v_sub_f16_e32 v129, v44, v35
	v_sub_f16_e32 v137, v74, v68
	v_mul_f16_e32 v90, 0xbb7b, v118
	v_mul_f16_e32 v93, 0xbb7b, v128
	;; [unrolled: 1-line block ×8, first 2 shown]
	v_fmamk_f16 v153, v30, 0x2fb7, v88
	v_fma_f16 v154, v77, 0x2fb7, -v92
	v_fmamk_f16 v155, v30, 0xbbc4, v105
	v_fma_f16 v156, v77, 0xbbc4, -v108
	;; [unrolled: 2-line block ×4, first 2 shown]
	v_add_f16_e32 v37, v39, v37
	v_add_f16_e32 v38, v40, v38
	;; [unrolled: 1-line block ×10, first 2 shown]
	v_sub_f16_e32 v136, v43, v36
	v_sub_f16_e32 v138, v72, v69
	v_mul_f16_e32 v87, 0xb94e, v129
	v_mul_f16_e32 v95, 0xb94e, v137
	;; [unrolled: 1-line block ×8, first 2 shown]
	v_fmamk_f16 v161, v79, 0xb5ac, v90
	v_fma_f16 v162, v80, 0xb5ac, -v93
	v_fmamk_f16 v163, v79, 0xb9fd, v106
	v_fma_f16 v164, v80, 0xb9fd, -v109
	;; [unrolled: 2-line block ×4, first 2 shown]
	v_add_f16_e32 v37, v153, v37
	v_add_f16_e32 v38, v154, v38
	;; [unrolled: 1-line block ×10, first 2 shown]
	v_mul_f16_e32 v89, 0xb3a8, v136
	v_mul_f16_e32 v96, 0xb3a8, v138
	;; [unrolled: 1-line block ×8, first 2 shown]
	v_fmamk_f16 v169, v81, 0xb9fd, v87
	v_fma_f16 v170, v82, 0xb9fd, -v95
	v_fmamk_f16 v171, v81, 0x2fb7, v104
	v_fma_f16 v172, v82, 0x2fb7, -v111
	;; [unrolled: 2-line block ×4, first 2 shown]
	v_add_f16_e32 v37, v161, v37
	v_add_f16_e32 v38, v162, v38
	;; [unrolled: 1-line block ×8, first 2 shown]
	v_fmamk_f16 v177, v83, 0xbbc4, v89
	v_fma_f16 v178, v84, 0xbbc4, -v96
	v_fmamk_f16 v179, v83, 0x3b15, v100
	v_fma_f16 v180, v84, 0x3b15, -v113
	;; [unrolled: 2-line block ×4, first 2 shown]
	v_add_f16_e32 v37, v169, v37
	v_add_f16_e32 v38, v170, v38
	;; [unrolled: 1-line block ×16, first 2 shown]
	s_and_saveexec_b32 s1, s0
	s_cbranch_execz .LBB0_11
; %bb.10:
	v_mul_f16_e32 v163, 0xb3a8, v98
	v_mul_f16_e32 v169, 0x3770, v101
	v_mul_f16_e32 v177, 0xb3a8, v91
	v_mul_f16_e32 v174, 0xb94e, v122
	v_mul_f16_e32 v181, 0x3770, v97
	v_fmamk_f16 v168, v15, 0xbbc4, v163
	v_fmamk_f16 v173, v28, 0x3b15, v169
	v_fma_f16 v180, v13, 0xbbc4, -v177
	v_mul_f16_e32 v178, 0x3a95, v128
	v_fma_f16 v183, v18, 0x3b15, -v181
	v_add_f16_sdwa v168, v12, v168 dst_sel:DWORD dst_unused:UNUSED_PAD src0_sel:WORD_1 src1_sel:DWORD
	v_mul_f16_e32 v184, 0xb94e, v107
	v_add_f16_e32 v180, v12, v180
	v_mul_f16_e32 v182, 0xbb7b, v137
	v_mul_f16_e32 v186, 0x3a95, v118
	v_add_f16_e32 v168, v173, v168
	v_fmamk_f16 v173, v77, 0xb9fd, v174
	v_add_f16_e32 v180, v183, v180
	v_fma_f16 v183, v30, 0xb9fd, -v184
	v_mul_f16_e32 v187, 0xbb7b, v129
	v_mul_f16_e32 v98, 0xb94e, v98
	v_add_f16_e32 v168, v173, v168
	v_fmamk_f16 v173, v80, 0x388b, v178
	v_add_f16_e32 v180, v183, v180
	v_fma_f16 v183, v79, 0x388b, -v186
	v_mul_f16_e32 v91, 0xb94e, v91
	v_fmamk_f16 v189, v15, 0xb9fd, v98
	v_add_f16_e32 v168, v173, v168
	v_fmamk_f16 v173, v82, 0xb5ac, v182
	v_add_f16_e32 v180, v183, v180
	v_fma_f16 v183, v81, 0xb5ac, -v187
	v_mul_f16_e32 v101, 0x3bf1, v101
	v_fma_f16 v191, v13, 0xb9fd, -v91
	v_add_f16_e32 v168, v173, v168
	v_mul_f16_e32 v173, 0x3bf1, v138
	v_add_f16_e32 v180, v183, v180
	v_mul_f16_e32 v183, 0x3bf1, v136
	v_mul_f16_e32 v97, 0x3bf1, v97
	;; [unrolled: 1-line block ×3, first 2 shown]
	v_fmamk_f16 v188, v84, 0x2fb7, v173
	v_add_f16_e32 v191, v12, v191
	v_fma_f16 v190, v83, 0x2fb7, -v183
	v_fma_f16 v192, v18, 0x2fb7, -v97
	v_mul_f16_e32 v107, 0xba95, v107
	v_add_f16_e32 v168, v188, v168
	v_add_f16_sdwa v188, v12, v189 dst_sel:DWORD dst_unused:UNUSED_PAD src0_sel:WORD_1 src1_sel:DWORD
	v_fmamk_f16 v189, v28, 0x2fb7, v101
	v_mul_f16_e32 v147, 0x388b, v13
	v_mul_f16_e32 v128, 0x33a8, v128
	v_add_f16_e32 v180, v190, v180
	v_add_f16_e32 v190, v192, v191
	;; [unrolled: 1-line block ×3, first 2 shown]
	v_fmamk_f16 v189, v77, 0x388b, v122
	v_fma_f16 v191, v30, 0x388b, -v107
	v_mul_f16_e32 v118, 0x33a8, v118
	v_mul_f16_e32 v155, 0xb5ac, v18
	v_mul_f16_e32 v137, 0x3770, v137
	v_add_f16_e32 v188, v189, v188
	v_fmamk_f16 v189, v80, 0xbbc4, v128
	v_add_f16_e32 v190, v191, v190
	v_fma_f16 v191, v79, 0xbbc4, -v118
	v_mul_f16_e32 v129, 0x3770, v129
	v_sub_f16_e32 v103, v147, v103
	v_mul_f16_e32 v151, 0xb5ac, v13
	v_mul_f16_e32 v164, 0xbbc4, v30
	v_add_f16_e32 v188, v189, v188
	v_fmamk_f16 v189, v82, 0x3b15, v137
	v_mul_f16_e32 v138, 0xbb7b, v138
	v_add_f16_e32 v190, v191, v190
	v_fma_f16 v191, v81, 0x3b15, -v129
	v_add_f16_e32 v103, v12, v103
	v_sub_f16_e32 v102, v155, v102
	v_mul_f16_e32 v146, 0x3b15, v15
	v_mul_f16_e32 v159, 0xb9fd, v18
	v_mul_f16_e32 v176, 0xb9fd, v79
	v_add_f16_e32 v188, v189, v188
	v_add_f16_e32 v190, v191, v190
	v_fmamk_f16 v191, v84, 0xb5ac, v138
	v_sub_f16_e32 v135, v151, v135
	v_add_f16_e32 v102, v102, v103
	v_sub_f16_e32 v103, v164, v105
	v_add_f16_e32 v78, v12, v78
	v_mul_f16_e32 v154, 0x388b, v28
	v_add_f16_e32 v188, v191, v188
	v_mul_f16_e32 v191, 0x2fb7, v81
	v_sub_f16_e32 v133, v159, v133
	v_add_f16_e32 v135, v12, v135
	v_add_f16_e32 v102, v103, v102
	v_sub_f16_e32 v103, v176, v106
	v_add_f16_e32 v99, v99, v146
	v_add_f16_e32 v76, v78, v76
	v_add_f16_sdwa v48, v12, v48 dst_sel:DWORD dst_unused:UNUSED_PAD src0_sel:WORD_1 src1_sel:DWORD
	v_mul_f16_e32 v152, 0xb5ac, v15
	v_mul_f16_e32 v162, 0x2fb7, v77
	v_add_f16_e32 v133, v133, v135
	v_mul_f16_e32 v135, 0x3b15, v83
	v_add_f16_e32 v102, v103, v102
	v_sub_f16_e32 v103, v191, v104
	v_add_f16_sdwa v99, v12, v99 dst_sel:DWORD dst_unused:UNUSED_PAD src0_sel:WORD_1 src1_sel:DWORD
	v_add_f16_e32 v94, v94, v154
	v_add_f16_e32 v75, v76, v75
	;; [unrolled: 1-line block ×3, first 2 shown]
	v_mul_f16_e32 v171, 0x3b15, v77
	v_mul_f16_e32 v175, 0xb5ac, v80
	v_add_f16_e32 v144, v144, v152
	v_mul_f16_e32 v152, 0x2fb7, v80
	v_add_f16_e32 v102, v103, v102
	v_sub_f16_e32 v78, v135, v100
	v_add_f16_e32 v94, v94, v99
	v_add_f16_e32 v92, v92, v162
	;; [unrolled: 1-line block ×5, first 2 shown]
	v_mul_f16_e32 v171, 0xb9fd, v82
	v_add_f16_e32 v139, v139, v152
	v_mul_f16_e32 v152, 0xbbc4, v82
	v_add_f16_e32 v48, v78, v102
	v_add_f16_e32 v78, v92, v94
	;; [unrolled: 1-line block ×6, first 2 shown]
	v_mul_f16_e32 v152, 0xbbc4, v84
	v_add_f16_e32 v46, v47, v78
	v_add_f16_e32 v47, v95, v171
	v_add_f16_e32 v72, v73, v72
	v_add_f16_e32 v44, v45, v44
	v_mul_f16_e32 v145, 0x3b15, v13
	v_mul_f16_e32 v148, 0x388b, v15
	v_add_f16_e32 v46, v47, v46
	v_add_f16_e32 v47, v96, v152
	;; [unrolled: 1-line block ×4, first 2 shown]
	v_mul_f16_e32 v149, 0x2fb7, v13
	v_mul_f16_e32 v150, 0x2fb7, v15
	v_add_f16_e32 v46, v47, v46
	v_add_f16_e32 v47, v69, v68
	v_add_f16_e32 v36, v43, v36
	v_fma_f16 v43, v15, 0xbbc4, -v163
	v_mul_f16_e32 v160, 0xb9fd, v28
	v_mul_f16_e32 v153, 0x388b, v18
	v_add_f16_e32 v47, v47, v67
	v_add_f16_e32 v35, v36, v35
	v_add_f16_sdwa v36, v12, v43 dst_sel:DWORD dst_unused:UNUSED_PAD src0_sel:WORD_1 src1_sel:DWORD
	v_fma_f16 v43, v28, 0x3b15, -v169
	v_sub_f16_e32 v76, v145, v86
	v_add_f16_e32 v47, v47, v66
	v_add_f16_e32 v34, v35, v34
	v_mul_f16_e32 v156, 0xb5ac, v28
	v_add_f16_e32 v35, v43, v36
	v_fma_f16 v36, v77, 0xb9fd, -v174
	v_mul_f16_e32 v157, 0xbbc4, v18
	v_mul_f16_e32 v158, 0xbbc4, v28
	;; [unrolled: 1-line block ×3, first 2 shown]
	v_add_f16_sdwa v144, v12, v144 dst_sel:DWORD dst_unused:UNUSED_PAD src0_sel:WORD_1 src1_sel:DWORD
	v_add_f16_e32 v142, v142, v160
	v_add_f16_e32 v127, v127, v150
	v_sub_f16_e32 v119, v149, v119
	v_add_f16_e32 v112, v112, v148
	v_add_f16_e32 v19, v47, v19
	;; [unrolled: 1-line block ×4, first 2 shown]
	v_fma_f16 v35, v80, 0x388b, -v178
	v_mul_f16_e32 v161, 0x2fb7, v30
	v_add_f16_e32 v75, v12, v76
	v_sub_f16_e32 v76, v153, v85
	v_mul_f16_e32 v165, 0xbbc4, v77
	v_mul_f16_e32 v166, 0xb5ac, v30
	;; [unrolled: 1-line block ×5, first 2 shown]
	v_add_f16_e32 v142, v142, v144
	v_sub_f16_e32 v134, v170, v134
	v_add_f16_sdwa v127, v12, v127 dst_sel:DWORD dst_unused:UNUSED_PAD src0_sel:WORD_1 src1_sel:DWORD
	v_add_f16_e32 v126, v126, v158
	v_add_f16_e32 v119, v12, v119
	v_sub_f16_e32 v116, v157, v116
	v_add_f16_sdwa v112, v12, v112 dst_sel:DWORD dst_unused:UNUSED_PAD src0_sel:WORD_1 src1_sel:DWORD
	v_add_f16_e32 v110, v110, v156
	v_fmac_f16_e32 v177, 0xbbc4, v13
	v_add_f16_e32 v16, v19, v16
	v_add_f16_e32 v17, v29, v17
	;; [unrolled: 1-line block ×3, first 2 shown]
	v_fma_f16 v29, v82, 0xb5ac, -v182
	v_fma_f16 v15, v15, 0xb9fd, -v98
	v_fmac_f16_e32 v91, 0xb9fd, v13
	v_mul_f16_e32 v172, 0xb5ac, v79
	v_add_f16_e32 v74, v76, v75
	v_sub_f16_e32 v45, v161, v88
	v_mul_f16_e32 v179, 0xb9fd, v80
	v_mul_f16_e32 v185, 0x3b15, v79
	;; [unrolled: 1-line block ×3, first 2 shown]
	v_fma_f16 v144, v83, 0xb5ac, -v136
	v_add_f16_e32 v142, v143, v142
	v_mul_f16_e32 v159, 0xbbc4, v81
	v_add_f16_e32 v133, v134, v133
	v_sub_f16_e32 v131, v189, v131
	v_add_f16_e32 v126, v126, v127
	v_add_f16_e32 v124, v124, v167
	;; [unrolled: 1-line block ×3, first 2 shown]
	v_sub_f16_e32 v119, v166, v120
	v_add_f16_e32 v110, v110, v112
	v_add_f16_e32 v108, v108, v165
	;; [unrolled: 1-line block ×3, first 2 shown]
	v_fmac_f16_e32 v181, 0x3b15, v18
	v_add_f16_e32 v14, v17, v14
	v_add_f16_e32 v17, v29, v19
	v_add_f16_sdwa v15, v12, v15 dst_sel:DWORD dst_unused:UNUSED_PAD src0_sel:WORD_1 src1_sel:DWORD
	v_fma_f16 v19, v28, 0x2fb7, -v101
	v_add_f16_e32 v12, v12, v91
	v_fmac_f16_e32 v97, 0x2fb7, v18
	v_mul_f16_e32 v160, 0xb9fd, v81
	v_add_f16_e32 v44, v45, v74
	v_sub_f16_e32 v45, v172, v90
	v_add_f16_e32 v144, v144, v190
	v_mul_f16_e32 v190, 0x2fb7, v82
	v_mul_f16_e32 v143, 0x388b, v81
	v_mul_f16_e32 v151, 0x388b, v82
	v_add_f16_e32 v139, v139, v142
	v_mul_f16_e32 v189, 0x388b, v83
	v_add_f16_e32 v131, v131, v133
	v_sub_f16_e32 v130, v159, v130
	v_add_f16_e32 v124, v124, v126
	v_add_f16_e32 v125, v125, v192
	;; [unrolled: 1-line block ×3, first 2 shown]
	v_sub_f16_e32 v117, v185, v117
	v_add_f16_e32 v108, v108, v110
	v_add_f16_e32 v109, v109, v179
	;; [unrolled: 1-line block ×3, first 2 shown]
	v_fmac_f16_e32 v184, 0xb9fd, v30
	v_add_f16_e32 v15, v19, v15
	v_fma_f16 v19, v77, 0x388b, -v122
	v_add_f16_e32 v12, v97, v12
	v_fmac_f16_e32 v107, 0x388b, v30
	v_mul_f16_e32 v142, 0xbbc4, v83
	v_add_f16_e32 v44, v45, v44
	v_sub_f16_e32 v45, v160, v87
	v_fma_f16 v18, v84, 0x2fb7, -v173
	v_mul_f16_e32 v170, 0x3b15, v84
	v_add_f16_e32 v139, v140, v139
	v_mul_f16_e32 v140, 0xb9fd, v83
	v_mul_f16_e32 v150, 0xb9fd, v84
	v_add_f16_e32 v130, v130, v131
	v_sub_f16_e32 v120, v189, v132
	v_add_f16_e32 v124, v125, v124
	v_add_f16_e32 v123, v123, v151
	;; [unrolled: 1-line block ×3, first 2 shown]
	v_sub_f16_e32 v112, v143, v114
	v_add_f16_e32 v108, v109, v108
	v_add_f16_e32 v109, v111, v190
	;; [unrolled: 1-line block ×3, first 2 shown]
	v_fmac_f16_e32 v186, 0x388b, v79
	v_add_f16_e32 v15, v19, v15
	v_fma_f16 v19, v80, 0xbbc4, -v128
	v_add_f16_e32 v12, v107, v12
	v_fmac_f16_e32 v118, 0xbbc4, v79
	v_mul_f16_e32 v134, 0x388b, v84
	v_add_f16_e32 v44, v45, v44
	v_sub_f16_e32 v45, v142, v89
	v_add_f16_e32 v17, v18, v17
	v_mov_b32_e32 v18, 39
	v_add_f16_e32 v119, v120, v130
	v_add_f16_e32 v120, v123, v124
	;; [unrolled: 1-line block ×4, first 2 shown]
	v_sub_f16_e32 v105, v140, v115
	v_add_f16_e32 v106, v109, v108
	v_add_f16_e32 v108, v113, v170
	;; [unrolled: 1-line block ×3, first 2 shown]
	v_fmac_f16_e32 v187, 0xb5ac, v81
	v_add_f16_e32 v15, v19, v15
	v_fma_f16 v19, v82, 0x3b15, -v137
	v_add_f16_e32 v12, v118, v12
	v_fmac_f16_e32 v129, 0x3b15, v81
	v_add_f16_e32 v134, v141, v134
	v_add_f16_e32 v43, v45, v44
	v_mul_u32_u24_sdwa v18, v61, v18 dst_sel:DWORD dst_unused:UNUSED_PAD src0_sel:WORD_0 src1_sel:DWORD
	v_add_f16_e32 v111, v114, v120
	v_add_f16_e32 v105, v105, v110
	v_add_f16_e32 v104, v108, v106
	v_add_f16_e32 v13, v187, v13
	v_fmac_f16_e32 v183, 0x2fb7, v83
	v_add_f16_e32 v15, v19, v15
	v_fma_f16 v19, v84, 0xb5ac, -v138
	v_add_f16_e32 v12, v129, v12
	v_fmac_f16_e32 v136, 0xb5ac, v83
	v_add_f16_e32 v127, v134, v139
	v_add_lshl_u32 v18, v18, v60, 2
	v_pack_b32_f16 v14, v16, v14
	v_pack_b32_f16 v16, v43, v46
	;; [unrolled: 1-line block ×4, first 2 shown]
	v_add_f16_e32 v13, v183, v13
	v_add_f16_e32 v15, v19, v15
	;; [unrolled: 1-line block ×3, first 2 shown]
	ds_write2_b32 v18, v14, v16 offset1:3
	ds_write2_b32 v18, v28, v29 offset0:6 offset1:9
	v_pack_b32_f16 v14, v119, v127
	v_pack_b32_f16 v16, v144, v188
	;; [unrolled: 1-line block ×5, first 2 shown]
	v_perm_b32 v15, v38, v37, 0x5040100
	v_perm_b32 v17, v42, v39, 0x5040100
	;; [unrolled: 1-line block ×4, first 2 shown]
	ds_write2_b32 v18, v14, v16 offset0:12 offset1:15
	ds_write2_b32 v18, v19, v13 offset0:18 offset1:21
	;; [unrolled: 1-line block ×4, first 2 shown]
	ds_write_b32 v18, v29 offset:144
.LBB0_11:
	s_or_b32 exec_lo, exec_lo, s1
	v_add_nc_u32_e32 v12, 0x300, v49
	v_add_nc_u32_e32 v16, 0xc00, v49
	;; [unrolled: 1-line block ×3, first 2 shown]
	s_waitcnt lgkmcnt(0)
	s_barrier
	buffer_gl0_inv
	ds_read2_b32 v[14:15], v49 offset1:117
	ds_read2_b32 v[12:13], v12 offset0:42 offset1:237
	ds_read2_b32 v[18:19], v16 offset0:90 offset1:207
	;; [unrolled: 1-line block ×3, first 2 shown]
	ds_read_b32 v43, v49 offset:4368
	s_and_saveexec_b32 s1, vcc_lo
	s_cbranch_execz .LBB0_13
; %bb.12:
	ds_read_b32 v37, v49 offset:1404
	ds_read_b32 v39, v49 offset:3120
	;; [unrolled: 1-line block ×3, first 2 shown]
	s_waitcnt lgkmcnt(2)
	v_lshrrev_b32_e32 v38, 16, v37
	s_waitcnt lgkmcnt(1)
	v_lshrrev_b32_e32 v42, 16, v39
	;; [unrolled: 2-line block ×3, first 2 shown]
.LBB0_13:
	s_or_b32 exec_lo, exec_lo, s1
	v_mul_lo_u16 v27, 0xa5, v27
	v_and_b32_e32 v28, 0xff, v31
	v_mov_b32_e32 v29, 0xa41b
	v_mov_b32_e32 v67, 0x75
	s_waitcnt lgkmcnt(2)
	v_lshrrev_b32_e32 v74, 16, v18
	v_lshrrev_b16 v27, 8, v27
	v_mul_lo_u16 v28, 0xa5, v28
	v_mul_u32_u24_sdwa v34, v32, v29 dst_sel:DWORD dst_unused:UNUSED_PAD src0_sel:WORD_0 src1_sel:DWORD
	v_mul_u32_u24_sdwa v29, v33, v29 dst_sel:DWORD dst_unused:UNUSED_PAD src0_sel:WORD_0 src1_sel:DWORD
	s_waitcnt lgkmcnt(1)
	v_lshrrev_b32_e32 v76, 16, v16
	v_sub_nc_u16 v30, v56, v27
	v_lshrrev_b16 v28, 8, v28
	v_lshrrev_b32_e32 v34, 16, v34
	v_lshrrev_b32_e32 v29, 16, v29
	;; [unrolled: 1-line block ×3, first 2 shown]
	v_lshrrev_b16 v30, 1, v30
	v_sub_nc_u16 v35, v31, v28
	v_sub_nc_u16 v36, v32, v34
	v_lshrrev_b32_e32 v79, 16, v17
	v_lshrrev_b32_e32 v73, 16, v14
	v_and_b32_e32 v30, 0x7f, v30
	v_lshrrev_b16 v35, 1, v35
	v_lshrrev_b16 v36, 1, v36
	v_lshrrev_b32_e32 v75, 16, v15
	v_lshrrev_b32_e32 v78, 16, v12
	v_add_nc_u16 v27, v30, v27
	v_sub_nc_u16 v30, v33, v29
	v_and_b32_e32 v35, 0x7f, v35
	v_add_nc_u16 v34, v36, v34
	v_lshrrev_b16 v27, 5, v27
	v_lshrrev_b16 v30, 1, v30
	v_add_nc_u16 v28, v35, v28
	v_lshrrev_b16 v45, 5, v34
	v_and_b32_e32 v44, 7, v27
	v_add_nc_u16 v27, v30, v29
	v_lshrrev_b16 v28, 5, v28
	v_mul_lo_u16 v29, v44, 39
	v_lshrrev_b16 v46, 5, v27
	v_and_b32_e32 v47, 7, v28
	v_mul_lo_u16 v27, v45, 39
	v_mul_u32_u24_sdwa v44, v44, v67 dst_sel:DWORD dst_unused:UNUSED_PAD src0_sel:WORD_0 src1_sel:DWORD
	v_sub_nc_u16 v28, v56, v29
	v_mul_lo_u16 v29, v46, 39
	v_mul_lo_u16 v30, v47, 39
	v_sub_nc_u16 v48, v32, v27
	v_mul_u32_u24_sdwa v47, v47, v67 dst_sel:DWORD dst_unused:UNUSED_PAD src0_sel:WORD_0 src1_sel:DWORD
	v_and_b32_e32 v68, 0xff, v28
	v_sub_nc_u16 v66, v33, v29
	v_sub_nc_u16 v27, v31, v30
	v_lshlrev_b16 v28, 3, v48
	v_mad_u16 v45, 0x75, v45, v48
	v_lshlrev_b32_e32 v29, 3, v68
	v_lshlrev_b16 v30, 3, v66
	v_and_b32_e32 v72, 0xff, v27
	v_and_b32_e32 v27, 0xffff, v28
	v_mad_u16 v66, 0x75, v46, v66
	global_load_dwordx2 v[35:36], v29, s[2:3] offset:144
	v_and_b32_e32 v29, 0xffff, v30
	v_lshlrev_b32_e32 v30, 3, v72
	v_add_co_u32 v27, s1, s2, v27
	v_add_co_ci_u32_e64 v28, null, s3, 0, s1
	v_add_co_u32 v31, s1, s2, v29
	v_add_co_ci_u32_e64 v32, null, s3, 0, s1
	s_clause 0x2
	global_load_dwordx2 v[33:34], v30, s[2:3] offset:144
	global_load_dwordx2 v[29:30], v[27:28], off offset:144
	global_load_dwordx2 v[27:28], v[31:32], off offset:144
	v_lshrrev_b32_e32 v32, 16, v13
	v_mov_b32_e32 v31, 2
	v_add_lshl_u32 v69, v44, v68, 2
	v_add_lshl_u32 v68, v47, v72, 2
	s_waitcnt lgkmcnt(0)
	v_lshrrev_b32_e32 v48, 16, v43
	s_waitcnt vmcnt(0)
	v_lshlrev_b32_sdwa v67, v31, v45 dst_sel:DWORD dst_unused:UNUSED_PAD src0_sel:DWORD src1_sel:WORD_0
	s_barrier
	buffer_gl0_inv
	v_mul_f16_sdwa v44, v32, v35 dst_sel:DWORD dst_unused:UNUSED_PAD src0_sel:DWORD src1_sel:WORD_1
	v_mul_f16_sdwa v45, v13, v35 dst_sel:DWORD dst_unused:UNUSED_PAD src0_sel:DWORD src1_sel:WORD_1
	;; [unrolled: 1-line block ×4, first 2 shown]
	v_fma_f16 v44, v13, v35, -v44
	v_fmac_f16_e32 v45, v32, v35
	v_fma_f16 v32, v18, v36, -v46
	v_fmac_f16_e32 v47, v74, v36
	v_mul_f16_sdwa v46, v76, v33 dst_sel:DWORD dst_unused:UNUSED_PAD src0_sel:DWORD src1_sel:WORD_1
	v_mul_f16_sdwa v72, v16, v33 dst_sel:DWORD dst_unused:UNUSED_PAD src0_sel:DWORD src1_sel:WORD_1
	;; [unrolled: 1-line block ×12, first 2 shown]
	v_fma_f16 v46, v16, v33, -v46
	v_fmac_f16_e32 v72, v76, v33
	v_fma_f16 v74, v19, v34, -v74
	v_fmac_f16_e32 v80, v77, v34
	v_fma_f16 v19, v17, v29, -v81
	v_fma_f16 v17, v39, v27, -v85
	v_fmac_f16_e32 v18, v42, v27
	v_fma_f16 v16, v40, v28, -v86
	v_fmac_f16_e32 v13, v41, v28
	v_add_f16_e32 v39, v14, v44
	v_add_f16_e32 v40, v44, v32
	v_sub_f16_e32 v41, v45, v47
	v_add_f16_e32 v42, v73, v45
	v_add_f16_e32 v45, v45, v47
	v_fmac_f16_e32 v82, v79, v29
	v_fma_f16 v43, v43, v30, -v83
	v_fmac_f16_e32 v84, v48, v30
	v_sub_f16_e32 v44, v44, v32
	v_add_f16_e32 v48, v39, v32
	v_fma_f16 v40, -0.5, v40, v14
	v_add_f16_e32 v42, v42, v47
	v_fmac_f16_e32 v73, -0.5, v45
	v_add_f16_e32 v39, v46, v74
	v_sub_f16_e32 v45, v72, v80
	v_add_f16_e32 v47, v75, v72
	v_add_f16_e32 v72, v72, v80
	;; [unrolled: 1-line block ×3, first 2 shown]
	v_sub_f16_e32 v79, v82, v84
	v_add_f16_e32 v81, v78, v82
	v_add_f16_e32 v82, v82, v84
	;; [unrolled: 1-line block ×5, first 2 shown]
	v_sub_f16_e32 v46, v46, v74
	v_fmamk_f16 v87, v41, 0x3aee, v40
	v_fmac_f16_e32 v40, 0xbaee, v41
	v_fmamk_f16 v41, v44, 0xbaee, v73
	v_fmac_f16_e32 v15, -0.5, v39
	v_fmac_f16_e32 v75, -0.5, v72
	v_add_f16_e32 v76, v12, v19
	v_sub_f16_e32 v83, v19, v43
	v_fmac_f16_e32 v12, -0.5, v77
	v_fmac_f16_e32 v78, -0.5, v82
	v_sub_f16_e32 v14, v18, v13
	v_sub_f16_e32 v19, v17, v16
	v_fmac_f16_e32 v73, 0x3aee, v44
	v_add_f16_e32 v44, v32, v74
	v_fma_f16 v32, -0.5, v85, v37
	v_fma_f16 v39, -0.5, v86, v38
	v_add_f16_e32 v74, v47, v80
	v_pack_b32_f16 v42, v48, v42
	v_fmamk_f16 v48, v45, 0x3aee, v15
	v_fmac_f16_e32 v15, 0xbaee, v45
	v_fmamk_f16 v45, v46, 0xbaee, v75
	v_pack_b32_f16 v41, v87, v41
	v_fmac_f16_e32 v75, 0x3aee, v46
	v_add_f16_e32 v43, v76, v43
	v_add_f16_e32 v76, v81, v84
	v_fmamk_f16 v46, v79, 0x3aee, v12
	v_fmamk_f16 v77, v83, 0xbaee, v78
	v_fmac_f16_e32 v12, 0xbaee, v79
	v_fmac_f16_e32 v78, 0x3aee, v83
	v_fmamk_f16 v47, v14, 0xbaee, v32
	v_fmamk_f16 v72, v19, 0x3aee, v39
	v_pack_b32_f16 v40, v40, v73
	v_pack_b32_f16 v44, v44, v74
	ds_write2_b32 v69, v42, v41 offset1:39
	v_pack_b32_f16 v41, v48, v45
	v_pack_b32_f16 v15, v15, v75
	;; [unrolled: 1-line block ×5, first 2 shown]
	ds_write_b32 v69, v40 offset:312
	ds_write2_b32 v68, v44, v41 offset1:39
	ds_write_b32 v68, v15 offset:312
	ds_write2_b32 v67, v43, v42 offset1:39
	ds_write_b32 v67, v12 offset:312
	s_and_saveexec_b32 s1, vcc_lo
	s_cbranch_execz .LBB0_15
; %bb.14:
	v_mul_f16_e32 v12, 0x3aee, v19
	v_add_f16_e32 v15, v38, v18
	v_add_f16_e32 v17, v37, v17
	v_mul_f16_e32 v14, 0x3aee, v14
	v_sub_f16_e32 v12, v39, v12
	v_add_f16_e32 v13, v15, v13
	v_add_f16_e32 v15, v17, v16
	;; [unrolled: 1-line block ×3, first 2 shown]
	v_lshlrev_b32_sdwa v16, v31, v66 dst_sel:DWORD dst_unused:UNUSED_PAD src0_sel:DWORD src1_sel:WORD_0
	v_pack_b32_f16 v13, v15, v13
	v_pack_b32_f16 v12, v14, v12
	v_perm_b32 v14, v72, v47, 0x5040100
	ds_write2_b32 v16, v13, v12 offset1:39
	ds_write_b32 v16, v14 offset:312
.LBB0_15:
	s_or_b32 exec_lo, exec_lo, s1
	v_mad_u64_u32 v[31:32], null, v56, 40, s[2:3]
	s_waitcnt lgkmcnt(0)
	s_barrier
	buffer_gl0_inv
	v_add_nc_u32_e32 v41, 0x600, v49
	v_add_nc_u32_e32 v43, 0x200, v49
	;; [unrolled: 1-line block ×3, first 2 shown]
	s_clause 0x2
	global_load_dwordx4 v[16:19], v[31:32], off offset:456
	global_load_dwordx4 v[12:15], v[31:32], off offset:472
	global_load_dwordx2 v[31:32], v[31:32], off offset:488
	ds_read2_b32 v[37:38], v49 offset1:117
	v_add_nc_u32_e32 v42, 0xe00, v49
	ds_read_b32 v85, v49 offset:4680
	ds_read2_b32 v[77:78], v43 offset0:106 offset1:223
	ds_read2_b32 v[79:80], v41 offset0:84 offset1:201
	;; [unrolled: 1-line block ×4, first 2 shown]
	s_waitcnt lgkmcnt(5)
	v_lshrrev_b32_e32 v46, 16, v38
	s_waitcnt lgkmcnt(4)
	v_lshrrev_b32_e32 v86, 16, v85
	;; [unrolled: 2-line block ×5, first 2 shown]
	v_lshrrev_b32_e32 v92, 16, v84
	v_lshrrev_b32_e32 v75, 16, v78
	;; [unrolled: 1-line block ×5, first 2 shown]
	s_waitcnt vmcnt(2)
	v_mul_f16_sdwa v93, v46, v16 dst_sel:DWORD dst_unused:UNUSED_PAD src0_sel:DWORD src1_sel:WORD_1
	v_mul_f16_sdwa v94, v38, v16 dst_sel:DWORD dst_unused:UNUSED_PAD src0_sel:DWORD src1_sel:WORD_1
	;; [unrolled: 1-line block ×5, first 2 shown]
	s_waitcnt vmcnt(1)
	v_mul_f16_sdwa v103, v90, v14 dst_sel:DWORD dst_unused:UNUSED_PAD src0_sel:DWORD src1_sel:WORD_1
	v_mul_f16_sdwa v104, v91, v15 dst_sel:DWORD dst_unused:UNUSED_PAD src0_sel:DWORD src1_sel:WORD_1
	s_waitcnt vmcnt(0)
	v_mul_f16_sdwa v105, v92, v31 dst_sel:DWORD dst_unused:UNUSED_PAD src0_sel:DWORD src1_sel:WORD_1
	v_fma_f16 v93, v38, v16, -v93
	v_fmac_f16_e32 v94, v46, v16
	v_mul_f16_sdwa v97, v75, v18 dst_sel:DWORD dst_unused:UNUSED_PAD src0_sel:DWORD src1_sel:WORD_1
	v_mul_f16_sdwa v76, v80, v12 dst_sel:DWORD dst_unused:UNUSED_PAD src0_sel:DWORD src1_sel:WORD_1
	;; [unrolled: 1-line block ×6, first 2 shown]
	v_fma_f16 v77, v77, v17, -v95
	v_fmac_f16_e32 v96, v73, v17
	v_fmac_f16_e32 v98, v75, v18
	v_fma_f16 v75, v82, v14, -v103
	v_fma_f16 v73, v83, v15, -v104
	v_fma_f16 v46, v84, v31, -v105
	v_add_f16_e32 v82, v37, v93
	v_add_f16_sdwa v83, v37, v94 dst_sel:DWORD dst_unused:UNUSED_PAD src0_sel:WORD_1 src1_sel:DWORD
	v_mul_f16_sdwa v99, v87, v19 dst_sel:DWORD dst_unused:UNUSED_PAD src0_sel:DWORD src1_sel:WORD_1
	v_mul_f16_sdwa v100, v79, v19 dst_sel:DWORD dst_unused:UNUSED_PAD src0_sel:DWORD src1_sel:WORD_1
	;; [unrolled: 1-line block ×4, first 2 shown]
	v_fma_f16 v78, v78, v18, -v97
	v_fmac_f16_e32 v76, v88, v12
	v_fmac_f16_e32 v48, v90, v14
	v_fma_f16 v38, v85, v32, -v106
	v_fmac_f16_e32 v44, v86, v32
	v_add_f16_e32 v88, v77, v46
	v_sub_f16_e32 v90, v77, v46
	v_add_f16_e32 v77, v82, v77
	v_add_f16_e32 v82, v83, v96
	v_mul_f16_sdwa v102, v89, v13 dst_sel:DWORD dst_unused:UNUSED_PAD src0_sel:DWORD src1_sel:WORD_1
	v_mul_f16_sdwa v74, v81, v13 dst_sel:DWORD dst_unused:UNUSED_PAD src0_sel:DWORD src1_sel:WORD_1
	v_fma_f16 v79, v79, v19, -v99
	v_fmac_f16_e32 v100, v87, v19
	v_fmac_f16_e32 v45, v92, v31
	v_add_f16_e32 v85, v94, v44
	v_sub_f16_e32 v86, v93, v38
	v_sub_f16_e32 v87, v94, v44
	v_add_f16_e32 v92, v78, v73
	v_sub_f16_e32 v94, v78, v73
	v_add_f16_e32 v77, v77, v78
	v_add_f16_e32 v78, v82, v98
	v_fma_f16 v80, v80, v12, -v101
	v_fma_f16 v81, v81, v13, -v102
	v_fmac_f16_e32 v74, v89, v13
	v_fmac_f16_e32 v40, v91, v15
	v_add_f16_e32 v84, v93, v38
	v_add_f16_e32 v89, v96, v45
	v_sub_f16_e32 v91, v96, v45
	v_mul_f16_e32 v83, 0xb853, v87
	v_mul_f16_e32 v96, 0xb853, v86
	v_add_f16_e32 v77, v77, v79
	v_add_f16_e32 v78, v78, v100
	v_sub_f16_e32 v95, v98, v40
	v_sub_f16_e32 v101, v79, v75
	v_sub_f16_e32 v102, v100, v48
	v_sub_f16_e32 v105, v80, v81
	v_sub_f16_e32 v106, v76, v74
	v_mul_f16_e32 v107, 0xbb47, v87
	v_mul_f16_e32 v108, 0xbb47, v86
	;; [unrolled: 1-line block ×8, first 2 shown]
	v_add_f16_e32 v93, v98, v40
	v_add_f16_e32 v104, v76, v74
	v_mul_f16_e32 v113, 0xbb47, v91
	v_mul_f16_e32 v114, 0xbb47, v90
	v_fma_f16 v82, v84, 0x3abb, -v83
	v_fmamk_f16 v98, v85, 0x3abb, v96
	v_add_f16_e32 v77, v77, v80
	v_add_f16_e32 v76, v78, v76
	;; [unrolled: 1-line block ×5, first 2 shown]
	v_mul_f16_e32 v115, 0xba0c, v91
	v_mul_f16_e32 v116, 0xba0c, v90
	;; [unrolled: 1-line block ×38, first 2 shown]
	v_fmac_f16_e32 v83, 0x3abb, v84
	v_fma_f16 v96, v85, 0x3abb, -v96
	v_fma_f16 v145, v84, 0x36a6, -v107
	v_fmamk_f16 v146, v85, 0x36a6, v108
	v_fmac_f16_e32 v107, 0x36a6, v84
	v_fma_f16 v108, v85, 0x36a6, -v108
	v_fma_f16 v147, v84, 0xb08e, -v109
	v_fmamk_f16 v148, v85, 0xb08e, v110
	;; [unrolled: 4-line block ×3, first 2 shown]
	v_fmac_f16_e32 v111, 0xb93d, v84
	v_fma_f16 v151, v84, 0xbbad, -v87
	v_fmamk_f16 v152, v85, 0xbbad, v86
	v_fma_f16 v112, v85, 0xb93d, -v112
	v_fmac_f16_e32 v87, 0xbbad, v84
	v_fma_f16 v84, v85, 0xbbad, -v86
	v_fma_f16 v85, v88, 0x36a6, -v113
	v_fmamk_f16 v86, v89, 0x36a6, v114
	v_add_f16_e32 v79, v37, v82
	v_add_f16_sdwa v82, v37, v98 dst_sel:DWORD dst_unused:UNUSED_PAD src0_sel:WORD_1 src1_sel:DWORD
	v_add_f16_e32 v77, v77, v81
	v_add_f16_e32 v74, v76, v74
	v_fmac_f16_e32 v113, 0x36a6, v88
	v_fma_f16 v114, v89, 0x36a6, -v114
	v_fma_f16 v153, v88, 0xb93d, -v115
	v_fmamk_f16 v154, v89, 0xb93d, v116
	v_fmac_f16_e32 v115, 0xb93d, v88
	v_fma_f16 v116, v89, 0xb93d, -v116
	v_fma_f16 v155, v88, 0xbbad, -v117
	v_fmamk_f16 v156, v89, 0xbbad, v118
	;; [unrolled: 4-line block ×19, first 2 shown]
	v_fmac_f16_e32 v106, 0xb08e, v103
	v_fma_f16 v103, v104, 0xb08e, -v105
	v_add_f16_e32 v83, v37, v83
	v_add_f16_sdwa v96, v37, v96 dst_sel:DWORD dst_unused:UNUSED_PAD src0_sel:WORD_1 src1_sel:DWORD
	v_add_f16_e32 v98, v37, v145
	v_add_f16_sdwa v100, v37, v146 dst_sel:DWORD dst_unused:UNUSED_PAD src0_sel:WORD_1 src1_sel:DWORD
	;; [unrolled: 2-line block ×6, first 2 shown]
	v_add_f16_e32 v111, v37, v111
	v_add_f16_e32 v147, v37, v151
	v_add_f16_sdwa v148, v37, v152 dst_sel:DWORD dst_unused:UNUSED_PAD src0_sel:WORD_1 src1_sel:DWORD
	v_add_f16_sdwa v112, v37, v112 dst_sel:DWORD dst_unused:UNUSED_PAD src0_sel:WORD_1 src1_sel:DWORD
	v_add_f16_e32 v87, v37, v87
	v_add_f16_sdwa v37, v37, v84 dst_sel:DWORD dst_unused:UNUSED_PAD src0_sel:WORD_1 src1_sel:DWORD
	v_add_f16_e32 v78, v85, v79
	v_add_f16_e32 v79, v86, v82
	;; [unrolled: 1-line block ×88, first 2 shown]
	v_pack_b32_f16 v48, v94, v76
	v_pack_b32_f16 v38, v38, v44
	;; [unrolled: 1-line block ×11, first 2 shown]
	ds_write2_b32 v49, v38, v48 offset1:117
	ds_write2_b32 v43, v75, v45 offset0:106 offset1:223
	ds_write2_b32 v41, v46, v76 offset0:84 offset1:201
	;; [unrolled: 1-line block ×4, first 2 shown]
	ds_write_b32 v49, v80 offset:4680
	s_waitcnt lgkmcnt(0)
	s_barrier
	buffer_gl0_inv
	global_load_dword v48, v[24:25], off offset:1052
	v_add_co_u32 v37, s1, 0x141c, v22
	v_add_co_ci_u32_e64 v38, s1, 0, v23, s1
	v_add_co_u32 v43, s1, 0x1800, v22
	v_add_co_ci_u32_e64 v44, s1, 0, v23, s1
	;; [unrolled: 2-line block ×3, first 2 shown]
	s_clause 0x7
	global_load_dword v82, v[37:38], off offset:468
	global_load_dword v83, v[43:44], off offset:1656
	;; [unrolled: 1-line block ×8, first 2 shown]
	ds_read2_b32 v[43:44], v49 offset1:117
	ds_read_b32 v90, v49 offset:4368
	s_waitcnt lgkmcnt(1)
	v_lshrrev_b32_e32 v45, 16, v43
	s_waitcnt lgkmcnt(0)
	v_lshrrev_b32_e32 v91, 16, v90
	s_waitcnt vmcnt(8)
	v_mul_f16_sdwa v46, v45, v48 dst_sel:DWORD dst_unused:UNUSED_PAD src0_sel:DWORD src1_sel:WORD_1
	v_mul_f16_sdwa v75, v43, v48 dst_sel:DWORD dst_unused:UNUSED_PAD src0_sel:DWORD src1_sel:WORD_1
	v_fma_f16 v43, v43, v48, -v46
	v_fmac_f16_e32 v75, v45, v48
	v_add_nc_u32_e32 v45, 0x300, v49
	v_add_nc_u32_e32 v48, 0xc00, v49
	;; [unrolled: 1-line block ×3, first 2 shown]
	s_waitcnt vmcnt(7)
	v_mul_f16_sdwa v93, v44, v82 dst_sel:DWORD dst_unused:UNUSED_PAD src0_sel:DWORD src1_sel:WORD_1
	v_pack_b32_f16 v43, v43, v75
	s_waitcnt vmcnt(5)
	v_mul_f16_sdwa v94, v91, v84 dst_sel:DWORD dst_unused:UNUSED_PAD src0_sel:DWORD src1_sel:WORD_1
	v_mul_f16_sdwa v95, v90, v84 dst_sel:DWORD dst_unused:UNUSED_PAD src0_sel:DWORD src1_sel:WORD_1
	ds_write_b32 v49, v43
	ds_read2_b32 v[75:76], v45 offset0:42 offset1:237
	ds_read2_b32 v[78:79], v48 offset0:90 offset1:207
	;; [unrolled: 1-line block ×3, first 2 shown]
	v_lshrrev_b32_e32 v43, 16, v44
	v_fmac_f16_e32 v95, v91, v84
	v_mul_f16_sdwa v92, v43, v82 dst_sel:DWORD dst_unused:UNUSED_PAD src0_sel:DWORD src1_sel:WORD_1
	v_fmac_f16_e32 v93, v43, v82
	v_fma_f16 v43, v90, v84, -v94
	v_fma_f16 v44, v44, v82, -v92
	v_pack_b32_f16 v43, v43, v95
	v_pack_b32_f16 v44, v44, v93
	s_waitcnt lgkmcnt(2)
	v_lshrrev_b32_e32 v82, 16, v76
	s_waitcnt vmcnt(4)
	v_mul_f16_sdwa v84, v76, v85 dst_sel:DWORD dst_unused:UNUSED_PAD src0_sel:DWORD src1_sel:WORD_1
	s_waitcnt lgkmcnt(1)
	v_lshrrev_b32_e32 v90, 16, v78
	s_waitcnt vmcnt(3)
	v_mul_f16_sdwa v91, v78, v86 dst_sel:DWORD dst_unused:UNUSED_PAD src0_sel:DWORD src1_sel:WORD_1
	s_waitcnt lgkmcnt(0)
	v_lshrrev_b32_e32 v92, 16, v80
	s_waitcnt vmcnt(2)
	v_mul_f16_sdwa v93, v80, v87 dst_sel:DWORD dst_unused:UNUSED_PAD src0_sel:DWORD src1_sel:WORD_1
	v_lshrrev_b32_e32 v94, 16, v79
	s_waitcnt vmcnt(1)
	v_mul_f16_sdwa v95, v79, v88 dst_sel:DWORD dst_unused:UNUSED_PAD src0_sel:DWORD src1_sel:WORD_1
	v_lshrrev_b32_e32 v96, 16, v75
	s_waitcnt vmcnt(0)
	v_mul_f16_sdwa v97, v75, v89 dst_sel:DWORD dst_unused:UNUSED_PAD src0_sel:DWORD src1_sel:WORD_1
	v_lshrrev_b32_e32 v98, 16, v81
	v_mul_f16_sdwa v100, v82, v85 dst_sel:DWORD dst_unused:UNUSED_PAD src0_sel:DWORD src1_sel:WORD_1
	v_fmac_f16_e32 v84, v82, v85
	v_mul_f16_sdwa v82, v90, v86 dst_sel:DWORD dst_unused:UNUSED_PAD src0_sel:DWORD src1_sel:WORD_1
	v_fmac_f16_e32 v91, v90, v86
	;; [unrolled: 2-line block ×4, first 2 shown]
	v_mul_f16_sdwa v94, v96, v89 dst_sel:DWORD dst_unused:UNUSED_PAD src0_sel:DWORD src1_sel:WORD_1
	v_mul_f16_sdwa v99, v81, v83 dst_sel:DWORD dst_unused:UNUSED_PAD src0_sel:DWORD src1_sel:WORD_1
	v_fmac_f16_e32 v97, v96, v89
	v_mul_f16_sdwa v96, v98, v83 dst_sel:DWORD dst_unused:UNUSED_PAD src0_sel:DWORD src1_sel:WORD_1
	v_fma_f16 v76, v76, v85, -v100
	v_fma_f16 v80, v80, v87, -v90
	;; [unrolled: 1-line block ×3, first 2 shown]
	v_fmac_f16_e32 v99, v98, v83
	v_fma_f16 v78, v78, v86, -v82
	v_fma_f16 v81, v81, v83, -v96
	;; [unrolled: 1-line block ×3, first 2 shown]
	v_pack_b32_f16 v76, v76, v84
	v_pack_b32_f16 v80, v80, v93
	;; [unrolled: 1-line block ×6, first 2 shown]
	ds_write2_b32 v41, v76, v80 offset0:45 offset1:162
	ds_write2_b32 v49, v44, v75 offset0:117 offset1:234
	;; [unrolled: 1-line block ×4, first 2 shown]
	s_and_saveexec_b32 s2, vcc_lo
	s_cbranch_execz .LBB0_17
; %bb.16:
	v_add_co_u32 v41, s1, 0x800, v37
	v_add_co_ci_u32_e64 v42, s1, 0, v38, s1
	global_load_dword v39, v[37:38], off offset:1404
	v_add_co_u32 v37, s1, 0x1000, v37
	v_add_co_ci_u32_e64 v38, s1, 0, v38, s1
	s_clause 0x1
	global_load_dword v41, v[41:42], off offset:1072
	global_load_dword v37, v[37:38], off offset:740
	ds_read_b32 v38, v49 offset:1404
	ds_read_b32 v42, v49 offset:3120
	;; [unrolled: 1-line block ×3, first 2 shown]
	s_waitcnt lgkmcnt(2)
	v_lshrrev_b32_e32 v44, 16, v38
	s_waitcnt lgkmcnt(1)
	v_lshrrev_b32_e32 v76, 16, v42
	;; [unrolled: 2-line block ×3, first 2 shown]
	s_waitcnt vmcnt(2)
	v_mul_f16_sdwa v75, v44, v39 dst_sel:DWORD dst_unused:UNUSED_PAD src0_sel:DWORD src1_sel:WORD_1
	v_mul_f16_sdwa v79, v38, v39 dst_sel:DWORD dst_unused:UNUSED_PAD src0_sel:DWORD src1_sel:WORD_1
	v_fma_f16 v38, v38, v39, -v75
	s_waitcnt vmcnt(1)
	v_mul_f16_sdwa v75, v76, v41 dst_sel:DWORD dst_unused:UNUSED_PAD src0_sel:DWORD src1_sel:WORD_1
	v_mul_f16_sdwa v80, v42, v41 dst_sel:DWORD dst_unused:UNUSED_PAD src0_sel:DWORD src1_sel:WORD_1
	s_waitcnt vmcnt(0)
	v_mul_f16_sdwa v81, v78, v37 dst_sel:DWORD dst_unused:UNUSED_PAD src0_sel:DWORD src1_sel:WORD_1
	v_mul_f16_sdwa v82, v43, v37 dst_sel:DWORD dst_unused:UNUSED_PAD src0_sel:DWORD src1_sel:WORD_1
	v_fmac_f16_e32 v79, v44, v39
	v_fma_f16 v39, v42, v41, -v75
	v_fmac_f16_e32 v80, v76, v41
	v_fma_f16 v41, v43, v37, -v81
	v_fmac_f16_e32 v82, v78, v37
	v_pack_b32_f16 v37, v38, v79
	v_pack_b32_f16 v38, v39, v80
	;; [unrolled: 1-line block ×3, first 2 shown]
	ds_write_b32 v49, v37 offset:1404
	ds_write_b32 v49, v38 offset:3120
	;; [unrolled: 1-line block ×3, first 2 shown]
.LBB0_17:
	s_or_b32 exec_lo, exec_lo, s2
	s_waitcnt lgkmcnt(0)
	s_barrier
	buffer_gl0_inv
	ds_read2_b32 v[43:44], v49 offset1:117
	ds_read2_b32 v[41:42], v45 offset0:42 offset1:237
	ds_read2_b32 v[38:39], v48 offset0:90 offset1:207
	ds_read2_b32 v[45:46], v46 offset0:34 offset1:151
	ds_read_b32 v75, v49 offset:4368
	s_and_saveexec_b32 s1, vcc_lo
	s_cbranch_execz .LBB0_19
; %bb.18:
	ds_read_b32 v40, v49 offset:1404
	ds_read_b32 v73, v49 offset:3120
	;; [unrolled: 1-line block ×3, first 2 shown]
	s_waitcnt lgkmcnt(2)
	v_lshrrev_b32_e32 v77, 16, v40
	s_waitcnt lgkmcnt(1)
	v_lshrrev_b32_e32 v74, 16, v73
	;; [unrolled: 2-line block ×3, first 2 shown]
.LBB0_19:
	s_or_b32 exec_lo, exec_lo, s1
	s_waitcnt lgkmcnt(2)
	v_pk_add_f16 v37, v42, v38
	v_pk_add_f16 v48, v42, v38 neg_lo:[0,1] neg_hi:[0,1]
	v_pk_add_f16 v42, v43, v42
	s_waitcnt lgkmcnt(1)
	v_pk_add_f16 v76, v44, v45
	s_waitcnt lgkmcnt(0)
	v_pk_fma_f16 v78, v37, 0.5, v43 op_sel_hi:[1,0,1] neg_lo:[1,0,0] neg_hi:[1,0,0]
	v_pk_mul_f16 v79, 0x3aee, v48 op_sel_hi:[0,1]
	v_pk_add_f16 v43, v45, v39
	v_pk_add_f16 v48, v46, v75
	;; [unrolled: 1-line block ×3, first 2 shown]
	v_pk_add_f16 v42, v46, v75 neg_lo:[0,1] neg_hi:[0,1]
	v_pk_add_f16 v45, v45, v39 neg_lo:[0,1] neg_hi:[0,1]
	v_pk_fma_f16 v82, v43, 0.5, v44 op_sel_hi:[1,0,1] neg_lo:[1,0,0] neg_hi:[1,0,0]
	v_pk_add_f16 v43, v41, v46
	v_pk_fma_f16 v41, v48, 0.5, v41 op_sel_hi:[1,0,1] neg_lo:[1,0,0] neg_hi:[1,0,0]
	v_pk_mul_f16 v84, 0x3aee, v42 op_sel_hi:[0,1]
	v_pk_add_f16 v48, v76, v39
	v_add_f16_e32 v39, v73, v47
	v_add_f16_e32 v42, v74, v72
	;; [unrolled: 1-line block ×3, first 2 shown]
	v_pk_mul_f16 v83, 0x3aee, v45 op_sel_hi:[0,1]
	v_pk_add_f16 v38, v78, v79 op_sel:[0,1] op_sel_hi:[1,0] neg_lo:[0,1] neg_hi:[0,1]
	v_pk_add_f16 v43, v43, v75
	v_fmac_f16_e32 v40, -0.5, v39
	v_sub_f16_e32 v75, v74, v72
	v_add_f16_e32 v74, v77, v74
	v_fmac_f16_e32 v77, -0.5, v42
	v_sub_f16_e32 v73, v73, v47
	v_add_f16_e32 v42, v46, v47
	v_pk_add_f16 v47, v78, v79 op_sel:[0,1] op_sel_hi:[1,0]
	v_pk_add_f16 v45, v82, v83 op_sel:[0,1] op_sel_hi:[1,0] neg_lo:[0,1] neg_hi:[0,1]
	v_pk_add_f16 v46, v82, v83 op_sel:[0,1] op_sel_hi:[1,0]
	v_pk_add_f16 v44, v41, v84 op_sel:[0,1] op_sel_hi:[1,0] neg_lo:[0,1] neg_hi:[0,1]
	v_pk_add_f16 v41, v41, v84 op_sel:[0,1] op_sel_hi:[1,0]
	v_fmamk_f16 v39, v75, 0xbaee, v40
	v_fmac_f16_e32 v40, 0x3aee, v75
	v_add_f16_e32 v81, v74, v72
	v_fmamk_f16 v80, v73, 0x3aee, v77
	v_fmac_f16_e32 v77, 0xbaee, v73
	v_bfi_b32 v72, 0xffff, v47, v38
	v_bfi_b32 v73, 0xffff, v38, v47
	;; [unrolled: 1-line block ×6, first 2 shown]
	s_barrier
	buffer_gl0_inv
	ds_write_b32 v62, v37
	ds_write2_b32 v62, v73, v72 offset0:1 offset1:2
	ds_write_b32 v64, v48
	ds_write2_b32 v64, v75, v74 offset0:1 offset1:2
	ds_write_b32 v65, v43
	ds_write2_b32 v65, v78, v76 offset0:1 offset1:2
	s_and_saveexec_b32 s1, vcc_lo
	s_cbranch_execz .LBB0_21
; %bb.20:
	v_lshlrev_b32_e32 v62, 2, v63
	v_perm_b32 v63, v80, v39, 0x5040100
	v_perm_b32 v64, v81, v42, 0x5040100
	v_perm_b32 v65, v77, v40, 0x5040100
	ds_write2_b32 v62, v64, v63 offset1:1
	ds_write_b32 v62, v65 offset:8
.LBB0_21:
	s_or_b32 exec_lo, exec_lo, s1
	v_lshrrev_b32_e32 v64, 16, v38
	v_lshrrev_b32_e32 v75, 16, v45
	;; [unrolled: 1-line block ×6, first 2 shown]
	s_waitcnt lgkmcnt(0)
	s_barrier
	buffer_gl0_inv
	s_and_saveexec_b32 s1, s0
	s_cbranch_execz .LBB0_23
; %bb.22:
	v_add_nc_u32_e32 v39, 0x200, v49
	v_add_nc_u32_e32 v40, 0x400, v49
	;; [unrolled: 1-line block ×4, first 2 shown]
	ds_read2_b32 v[37:38], v49 offset1:99
	ds_read2_b32 v[47:48], v39 offset0:70 offset1:169
	v_add_nc_u32_e32 v39, 0xe00, v49
	ds_read2_b32 v[45:46], v40 offset0:140 offset1:239
	ds_read2_b32 v[43:44], v41 offset0:82 offset1:181
	;; [unrolled: 1-line block ×4, first 2 shown]
	ds_read_b32 v70, v49 offset:4752
	s_waitcnt lgkmcnt(6)
	v_lshrrev_b32_e32 v62, 16, v38
	s_waitcnt lgkmcnt(5)
	v_lshrrev_b32_e32 v64, 16, v47
	;; [unrolled: 2-line block ×3, first 2 shown]
	v_lshrrev_b32_e32 v75, 16, v46
	s_waitcnt lgkmcnt(3)
	v_lshrrev_b32_e32 v78, 16, v44
	s_waitcnt lgkmcnt(2)
	v_lshrrev_b32_e32 v79, 16, v41
	v_lshrrev_b32_e32 v81, 16, v42
	s_waitcnt lgkmcnt(1)
	v_lshrrev_b32_e32 v80, 16, v39
	;; [unrolled: 3-line block ×3, first 2 shown]
.LBB0_23:
	s_or_b32 exec_lo, exec_lo, s1
	v_mul_f16_sdwa v65, v4, v62 dst_sel:DWORD dst_unused:UNUSED_PAD src0_sel:WORD_1 src1_sel:DWORD
	v_mul_f16_sdwa v63, v4, v38 dst_sel:DWORD dst_unused:UNUSED_PAD src0_sel:WORD_1 src1_sel:DWORD
	v_lshrrev_b32_e32 v73, 16, v48
	v_mul_f16_sdwa v72, v5, v64 dst_sel:DWORD dst_unused:UNUSED_PAD src0_sel:WORD_1 src1_sel:DWORD
	v_mul_f16_sdwa v76, v5, v47 dst_sel:DWORD dst_unused:UNUSED_PAD src0_sel:WORD_1 src1_sel:DWORD
	v_fmac_f16_e32 v65, v4, v38
	v_fma_f16 v63, v4, v62, -v63
	v_mul_f16_sdwa v62, v6, v73 dst_sel:DWORD dst_unused:UNUSED_PAD src0_sel:WORD_1 src1_sel:DWORD
	v_mul_f16_sdwa v4, v6, v48 dst_sel:DWORD dst_unused:UNUSED_PAD src0_sel:WORD_1 src1_sel:DWORD
	v_fmac_f16_e32 v72, v5, v47
	v_fma_f16 v64, v5, v64, -v76
	v_mul_f16_sdwa v47, v7, v74 dst_sel:DWORD dst_unused:UNUSED_PAD src0_sel:WORD_1 src1_sel:DWORD
	v_fmac_f16_e32 v62, v6, v48
	v_fma_f16 v48, v6, v73, -v4
	v_lshrrev_b32_e32 v4, 16, v43
	v_mul_f16_sdwa v5, v7, v45 dst_sel:DWORD dst_unused:UNUSED_PAD src0_sel:WORD_1 src1_sel:DWORD
	v_fmac_f16_e32 v47, v7, v45
	v_mul_f16_sdwa v73, v8, v75 dst_sel:DWORD dst_unused:UNUSED_PAD src0_sel:WORD_1 src1_sel:DWORD
	v_mul_f16_sdwa v6, v8, v46 dst_sel:DWORD dst_unused:UNUSED_PAD src0_sel:WORD_1 src1_sel:DWORD
	;; [unrolled: 1-line block ×3, first 2 shown]
	v_fma_f16 v74, v7, v74, -v5
	v_mul_f16_sdwa v5, v9, v43 dst_sel:DWORD dst_unused:UNUSED_PAD src0_sel:WORD_1 src1_sel:DWORD
	v_fmac_f16_e32 v73, v8, v46
	v_mul_f16_sdwa v46, v10, v78 dst_sel:DWORD dst_unused:UNUSED_PAD src0_sel:WORD_1 src1_sel:DWORD
	v_fmac_f16_e32 v45, v9, v43
	v_mul_f16_sdwa v76, v11, v79 dst_sel:DWORD dst_unused:UNUSED_PAD src0_sel:WORD_1 src1_sel:DWORD
	v_fma_f16 v43, v9, v4, -v5
	v_mul_f16_sdwa v4, v10, v44 dst_sel:DWORD dst_unused:UNUSED_PAD src0_sel:WORD_1 src1_sel:DWORD
	v_mul_f16_sdwa v5, v11, v41 dst_sel:DWORD dst_unused:UNUSED_PAD src0_sel:WORD_1 src1_sel:DWORD
	;; [unrolled: 1-line block ×3, first 2 shown]
	v_fmac_f16_e32 v76, v11, v41
	v_fma_f16 v75, v8, v75, -v6
	v_fma_f16 v78, v10, v78, -v4
	v_mul_f16_sdwa v4, v3, v70 dst_sel:DWORD dst_unused:UNUSED_PAD src0_sel:WORD_1 src1_sel:DWORD
	v_fma_f16 v41, v11, v79, -v5
	v_mul_f16_sdwa v6, v0, v42 dst_sel:DWORD dst_unused:UNUSED_PAD src0_sel:WORD_1 src1_sel:DWORD
	v_mul_f16_sdwa v79, v1, v80 dst_sel:DWORD dst_unused:UNUSED_PAD src0_sel:WORD_1 src1_sel:DWORD
	v_fmac_f16_e32 v7, v3, v70
	v_fma_f16 v5, v3, v71, -v4
	v_mul_f16_sdwa v4, v1, v39 dst_sel:DWORD dst_unused:UNUSED_PAD src0_sel:WORD_1 src1_sel:DWORD
	v_fmac_f16_e32 v46, v10, v44
	v_mul_f16_sdwa v44, v0, v81 dst_sel:DWORD dst_unused:UNUSED_PAD src0_sel:WORD_1 src1_sel:DWORD
	v_fma_f16 v71, v0, v81, -v6
	v_add_f16_e32 v88, v5, v63
	v_fmac_f16_e32 v79, v1, v39
	v_sub_f16_e32 v84, v63, v5
	v_fma_f16 v80, v1, v80, -v4
	v_mul_f16_sdwa v81, v2, v77 dst_sel:DWORD dst_unused:UNUSED_PAD src0_sel:WORD_1 src1_sel:DWORD
	v_mul_f16_sdwa v3, v2, v40 dst_sel:DWORD dst_unused:UNUSED_PAD src0_sel:WORD_1 src1_sel:DWORD
	v_sub_f16_e32 v1, v65, v7
	v_mul_f16_e32 v93, 0x388b, v88
	v_fmac_f16_e32 v44, v0, v42
	v_add_f16_e32 v0, v7, v65
	v_fmac_f16_e32 v81, v2, v40
	v_fma_f16 v40, v2, v77, -v3
	v_mul_f16_e32 v98, 0xbbf1, v84
	v_fmamk_f16 v2, v1, 0xba95, v93
	v_mul_f16_e32 v107, 0xbb7b, v84
	v_mul_f16_e32 v90, 0xba95, v84
	;; [unrolled: 1-line block ×3, first 2 shown]
	v_fma_f16 v3, v0, 0x2fb7, -v98
	v_add_f16_sdwa v8, v37, v2 dst_sel:DWORD dst_unused:UNUSED_PAD src0_sel:WORD_1 src1_sel:DWORD
	v_fma_f16 v2, v0, 0xb5ac, -v107
	v_sub_f16_e32 v86, v64, v40
	v_fma_f16 v4, v0, 0x388b, -v90
	v_mul_f16_e32 v102, 0x2fb7, v88
	v_add_f16_e32 v9, v37, v3
	v_fmamk_f16 v3, v1, 0xbb7b, v113
	v_add_f16_e32 v10, v37, v2
	v_add_f16_e32 v91, v40, v64
	;; [unrolled: 1-line block ×3, first 2 shown]
	v_mul_f16_e32 v94, 0xbb7b, v86
	v_add_f16_e32 v4, v37, v4
	v_fmamk_f16 v6, v1, 0xbbf1, v102
	v_add_f16_sdwa v11, v37, v3 dst_sel:DWORD dst_unused:UNUSED_PAD src0_sel:WORD_1 src1_sel:DWORD
	v_sub_f16_e32 v3, v72, v81
	v_mul_f16_e32 v100, 0xb5ac, v91
	v_mul_f16_e32 v105, 0xb3a8, v86
	v_fma_f16 v38, v2, 0xb5ac, -v94
	v_mul_f16_e32 v108, 0xbbc4, v91
	v_add_f16_sdwa v6, v37, v6 dst_sel:DWORD dst_unused:UNUSED_PAD src0_sel:WORD_1 src1_sel:DWORD
	v_mul_f16_e32 v115, 0x394e, v86
	v_fmamk_f16 v39, v3, 0xbb7b, v100
	v_fma_f16 v42, v2, 0xbbc4, -v105
	v_add_f16_e32 v38, v38, v4
	v_fmamk_f16 v4, v3, 0xb3a8, v108
	v_mul_f16_e32 v121, 0xb9fd, v91
	v_sub_f16_e32 v87, v48, v80
	v_add_f16_e32 v96, v80, v48
	v_fma_f16 v70, v2, 0xb9fd, -v115
	v_add_f16_e32 v8, v39, v8
	v_add_f16_e32 v9, v42, v9
	;; [unrolled: 1-line block ×3, first 2 shown]
	v_fmamk_f16 v42, v3, 0x394e, v121
	v_add_f16_e32 v4, v79, v62
	v_sub_f16_e32 v6, v62, v79
	v_mul_f16_e32 v101, 0xb3a8, v87
	v_mul_f16_e32 v103, 0xbbc4, v96
	v_add_f16_e32 v10, v70, v10
	v_add_f16_e32 v11, v42, v11
	v_mul_f16_e32 v112, 0xb5ac, v96
	v_fma_f16 v42, v4, 0xbbc4, -v101
	v_fmamk_f16 v70, v6, 0xb3a8, v103
	v_mul_f16_e32 v122, 0x3770, v87
	v_add_f16_e32 v95, v71, v74
	v_mul_f16_e32 v110, 0x3b7b, v87
	v_fmamk_f16 v82, v6, 0x3b7b, v112
	v_add_f16_e32 v38, v42, v38
	v_add_f16_e32 v8, v70, v8
	v_fma_f16 v42, v4, 0x3b15, -v122
	v_sub_f16_e32 v89, v74, v71
	v_sub_f16_e32 v70, v47, v44
	v_mul_f16_e32 v118, 0x3b15, v95
	v_fma_f16 v77, v4, 0xb5ac, -v110
	v_add_f16_e32 v39, v82, v39
	v_mul_f16_e32 v126, 0x3b15, v96
	v_add_f16_e32 v10, v42, v10
	v_add_f16_e32 v42, v44, v47
	v_mul_f16_e32 v106, 0x394e, v89
	v_fmamk_f16 v92, v70, 0x3770, v118
	v_add_f16_e32 v9, v77, v9
	v_mul_f16_e32 v109, 0xb9fd, v95
	v_mul_f16_e32 v116, 0x3770, v89
	v_fmamk_f16 v77, v6, 0x3770, v126
	v_fma_f16 v82, v42, 0xb9fd, -v106
	v_add_f16_e32 v39, v92, v39
	v_sub_f16_e32 v92, v75, v41
	v_add_f16_e32 v99, v41, v75
	v_fmamk_f16 v83, v70, 0x394e, v109
	v_fma_f16 v85, v42, 0x3b15, -v116
	v_add_f16_e32 v11, v77, v11
	v_add_f16_e32 v38, v82, v38
	v_mul_f16_e32 v125, 0xbbf1, v89
	v_mul_f16_e32 v129, 0x2fb7, v95
	v_add_f16_e32 v77, v76, v73
	v_sub_f16_e32 v82, v73, v76
	v_mul_f16_e32 v111, 0x3bf1, v92
	v_mul_f16_e32 v114, 0x2fb7, v99
	v_add_f16_e32 v8, v83, v8
	v_add_f16_e32 v9, v85, v9
	v_fma_f16 v83, v42, 0x2fb7, -v125
	v_mul_f16_e32 v119, 0xba95, v92
	v_fmamk_f16 v85, v70, 0xbbf1, v129
	v_fma_f16 v97, v77, 0x2fb7, -v111
	v_fmamk_f16 v104, v82, 0x3bf1, v114
	v_mul_f16_e32 v128, 0x33a8, v92
	v_mul_f16_e32 v131, 0xbbc4, v99
	v_add_f16_e32 v10, v83, v10
	v_fma_f16 v83, v77, 0x388b, -v119
	v_add_f16_e32 v11, v85, v11
	v_add_f16_e32 v38, v97, v38
	;; [unrolled: 1-line block ×3, first 2 shown]
	v_mul_f16_e32 v123, 0x388b, v99
	v_sub_f16_e32 v97, v43, v78
	v_fma_f16 v85, v77, 0xbbc4, -v128
	v_fmamk_f16 v120, v82, 0x33a8, v131
	v_add_f16_e32 v104, v78, v43
	v_add_f16_e32 v133, v83, v9
	v_fmamk_f16 v9, v82, 0xba95, v123
	v_add_f16_e32 v83, v46, v45
	v_mul_f16_e32 v117, 0x3770, v97
	v_add_f16_e32 v10, v85, v10
	v_add_f16_e32 v134, v120, v11
	v_sub_f16_e32 v85, v45, v46
	v_mul_f16_e32 v120, 0x3b15, v104
	v_mul_f16_e32 v124, 0xb94e, v97
	v_mul_f16_e32 v127, 0xb9fd, v104
	v_mul_f16_e32 v130, 0x3a95, v97
	v_mul_f16_e32 v132, 0x388b, v104
	v_add_f16_e32 v39, v9, v39
	v_fma_f16 v9, v83, 0x3b15, -v117
	v_fmamk_f16 v11, v85, 0x3770, v120
	v_fma_f16 v135, v83, 0xb9fd, -v124
	v_fmamk_f16 v136, v85, 0xb94e, v127
	;; [unrolled: 2-line block ×3, first 2 shown]
	v_add_f16_e32 v9, v9, v38
	v_add_f16_e32 v38, v11, v8
	v_add_f16_e32 v11, v135, v133
	v_add_f16_e32 v39, v136, v39
	v_add_f16_e32 v8, v137, v10
	v_add_f16_e32 v10, v138, v134
	s_barrier
	buffer_gl0_inv
	s_and_saveexec_b32 s1, s0
	s_cbranch_execz .LBB0_25
; %bb.24:
	v_mul_f16_e32 v135, 0x2fb7, v0
	v_mul_f16_e32 v141, 0xbbc4, v2
	;; [unrolled: 1-line block ×5, first 2 shown]
	v_add_f16_e32 v98, v135, v98
	v_mul_f16_e32 v161, 0x3b15, v91
	v_fmamk_f16 v160, v1, 0x33a8, v155
	v_add_f16_e32 v105, v141, v105
	v_mul_f16_e32 v133, 0x388b, v0
	v_add_f16_e32 v98, v37, v98
	v_mul_f16_e32 v140, 0xbb7b, v3
	v_mul_f16_e32 v153, 0x3b15, v42
	v_add_f16_sdwa v160, v37, v160 dst_sel:DWORD dst_unused:UNUSED_PAD src0_sel:WORD_1 src1_sel:DWORD
	v_fmamk_f16 v165, v3, 0xb770, v161
	v_mul_f16_e32 v166, 0xb9fd, v96
	v_add_f16_e32 v98, v105, v98
	v_add_f16_e32 v105, v147, v110
	v_sub_f16_e32 v93, v93, v134
	v_mul_f16_e32 v139, 0xb5ac, v2
	v_mul_f16_e32 v146, 0xb3a8, v6
	;; [unrolled: 1-line block ×3, first 2 shown]
	v_add_f16_e32 v160, v165, v160
	v_fmamk_f16 v165, v6, 0x394e, v166
	v_mul_f16_e32 v170, 0x388b, v95
	v_add_f16_e32 v98, v105, v98
	v_add_f16_e32 v105, v153, v116
	v_add_f16_sdwa v93, v37, v93 dst_sel:DWORD dst_unused:UNUSED_PAD src0_sel:WORD_1 src1_sel:DWORD
	v_sub_f16_e32 v100, v100, v140
	v_add_f16_e32 v90, v133, v90
	v_mul_f16_e32 v145, 0xbbc4, v4
	v_mul_f16_e32 v152, 0x394e, v70
	;; [unrolled: 1-line block ×3, first 2 shown]
	v_add_f16_e32 v160, v165, v160
	v_fmamk_f16 v165, v70, 0xba95, v170
	v_mul_f16_e32 v174, 0xb5ac, v99
	v_add_f16_e32 v98, v105, v98
	v_add_f16_e32 v93, v100, v93
	v_sub_f16_e32 v100, v103, v146
	v_add_f16_e32 v103, v162, v119
	v_add_f16_e32 v90, v37, v90
	;; [unrolled: 1-line block ×3, first 2 shown]
	v_mul_f16_e32 v151, 0xb9fd, v42
	v_mul_f16_e32 v159, 0x3bf1, v82
	v_add_f16_e32 v160, v165, v160
	v_fmamk_f16 v165, v82, 0x3b7b, v174
	v_mul_f16_e32 v181, 0xb9fd, v88
	v_add_f16_e32 v93, v100, v93
	v_sub_f16_e32 v100, v109, v152
	v_add_f16_e32 v98, v103, v98
	v_add_f16_e32 v90, v94, v90
	;; [unrolled: 1-line block ×4, first 2 shown]
	v_mul_f16_e32 v88, 0x3b15, v88
	v_mul_f16_e32 v158, 0x2fb7, v77
	v_add_f16_e32 v160, v165, v160
	v_mul_f16_e32 v165, 0x2fb7, v104
	v_fmamk_f16 v184, v1, 0x394e, v181
	v_mul_f16_e32 v185, 0x2fb7, v91
	v_add_f16_e32 v93, v100, v93
	v_sub_f16_e32 v100, v114, v159
	v_add_f16_e32 v90, v94, v90
	v_add_f16_e32 v94, v151, v106
	;; [unrolled: 1-line block ×3, first 2 shown]
	v_fmamk_f16 v101, v1, 0x3770, v88
	v_mul_f16_e32 v91, 0x388b, v91
	v_add_f16_e32 v65, v37, v65
	v_mul_f16_e32 v168, 0x3b15, v83
	v_fmamk_f16 v183, v85, 0xbbf1, v165
	v_add_f16_sdwa v184, v37, v184 dst_sel:DWORD dst_unused:UNUSED_PAD src0_sel:WORD_1 src1_sel:DWORD
	v_fmamk_f16 v187, v3, 0xbbf1, v185
	v_mul_f16_e32 v188, 0x388b, v96
	v_add_f16_e32 v93, v100, v93
	v_add_f16_e32 v90, v94, v90
	;; [unrolled: 1-line block ×3, first 2 shown]
	v_add_f16_sdwa v100, v37, v101 dst_sel:DWORD dst_unused:UNUSED_PAD src0_sel:WORD_1 src1_sel:DWORD
	v_fmamk_f16 v101, v3, 0x3a95, v91
	v_mul_f16_e32 v96, 0x2fb7, v96
	v_add_f16_e32 v65, v72, v65
	v_add_f16_sdwa v63, v63, v37 dst_sel:DWORD dst_unused:UNUSED_PAD src0_sel:DWORD src1_sel:WORD_1
	v_add_f16_e32 v160, v183, v160
	v_add_f16_e32 v183, v187, v184
	v_mul_f16_e32 v187, 0xbbc4, v95
	v_add_f16_e32 v90, v94, v90
	v_add_f16_e32 v94, v168, v117
	;; [unrolled: 1-line block ×3, first 2 shown]
	v_fmamk_f16 v101, v6, 0x3bf1, v96
	v_mul_f16_e32 v95, 0xb5ac, v95
	v_add_f16_e32 v62, v62, v65
	v_add_f16_e32 v63, v64, v63
	v_mul_f16_e32 v173, 0xb3a8, v84
	v_mul_f16_e32 v189, 0xb94e, v84
	;; [unrolled: 1-line block ×3, first 2 shown]
	v_add_f16_e32 v90, v94, v90
	v_add_f16_e32 v94, v101, v100
	v_fmamk_f16 v72, v70, 0x3b7b, v95
	v_mul_f16_e32 v99, 0xb9fd, v99
	v_mul_f16_e32 v84, 0xb770, v84
	v_add_f16_e32 v47, v47, v62
	v_add_f16_e32 v48, v48, v63
	;; [unrolled: 1-line block ×3, first 2 shown]
	v_fmamk_f16 v65, v82, 0x394e, v99
	v_fmamk_f16 v72, v0, 0x3b15, v84
	v_mul_f16_e32 v62, 0xba95, v86
	v_add_f16_e32 v47, v73, v47
	v_add_f16_e32 v48, v74, v48
	;; [unrolled: 1-line block ×4, first 2 shown]
	v_fmamk_f16 v65, v2, 0x388b, v62
	v_mul_f16_e32 v72, 0xbbf1, v87
	v_mul_f16_e32 v73, 0xbbc4, v104
	v_add_f16_e32 v45, v45, v47
	v_add_f16_e32 v47, v75, v48
	;; [unrolled: 1-line block ×3, first 2 shown]
	v_fmamk_f16 v64, v4, 0x2fb7, v72
	v_mul_f16_e32 v65, 0xbb7b, v89
	v_add_f16_e32 v45, v46, v45
	v_add_f16_e32 v43, v43, v47
	v_fmamk_f16 v46, v85, 0x33a8, v73
	v_add_f16_e32 v47, v64, v48
	v_fmamk_f16 v48, v42, 0xb5ac, v65
	v_add_f16_e32 v45, v76, v45
	v_add_f16_e32 v43, v78, v43
	;; [unrolled: 1-line block ×3, first 2 shown]
	v_mul_f16_e32 v63, 0xb94e, v92
	v_fmamk_f16 v176, v0, 0xbbc4, v173
	v_mul_f16_e32 v177, 0x3770, v86
	v_add_f16_e32 v47, v48, v47
	v_add_f16_e32 v44, v44, v45
	;; [unrolled: 1-line block ×3, first 2 shown]
	v_fmac_f16_e32 v155, 0xb3a8, v1
	v_fmamk_f16 v43, v77, 0xb9fd, v63
	v_mul_f16_e32 v45, 0xb3a8, v97
	v_add_f16_e32 v176, v37, v176
	v_fmamk_f16 v179, v2, 0x3b15, v177
	v_mul_f16_e32 v180, 0xb94e, v87
	v_add_f16_e32 v44, v79, v44
	v_add_f16_e32 v41, v71, v41
	v_add_f16_sdwa v48, v37, v155 dst_sel:DWORD dst_unused:UNUSED_PAD src0_sel:WORD_1 src1_sel:DWORD
	v_fmac_f16_e32 v161, 0x3770, v3
	v_add_f16_e32 v43, v43, v47
	v_fmamk_f16 v47, v83, 0xbbc4, v45
	v_add_f16_e32 v176, v179, v176
	v_fmamk_f16 v179, v4, 0xb9fd, v180
	v_mul_f16_e32 v182, 0x3a95, v89
	v_add_f16_e32 v44, v81, v44
	v_add_f16_e32 v41, v80, v41
	v_add_f16_e32 v48, v161, v48
	v_fmac_f16_e32 v166, 0xb94e, v6
	v_add_f16_e32 v43, v47, v43
	v_fma_f16 v47, v0, 0xbbc4, -v173
	v_add_f16_e32 v176, v179, v176
	v_fmamk_f16 v179, v42, 0x388b, v182
	v_mul_f16_e32 v186, 0xbb7b, v92
	v_add_f16_e32 v7, v7, v44
	v_add_f16_e32 v40, v40, v41
	;; [unrolled: 1-line block ×3, first 2 shown]
	v_fmac_f16_e32 v170, 0x3a95, v70
	v_add_f16_e32 v44, v37, v47
	v_fma_f16 v47, v2, 0x3b15, -v177
	v_fmac_f16_e32 v181, 0xb94e, v1
	v_add_f16_e32 v176, v179, v176
	v_fmamk_f16 v179, v77, 0xb5ac, v186
	v_add_f16_e32 v5, v5, v40
	v_add_f16_e32 v40, v170, v41
	;; [unrolled: 1-line block ×3, first 2 shown]
	v_fma_f16 v44, v4, 0xb9fd, -v180
	v_add_f16_sdwa v47, v37, v181 dst_sel:DWORD dst_unused:UNUSED_PAD src0_sel:WORD_1 src1_sel:DWORD
	v_fmac_f16_e32 v185, 0x3bf1, v3
	v_fmamk_f16 v184, v6, 0x3a95, v188
	v_add_f16_e32 v176, v179, v176
	v_mul_f16_e32 v179, 0x3bf1, v97
	v_add_f16_e32 v41, v44, v41
	v_fma_f16 v44, v42, 0x388b, -v182
	v_add_f16_e32 v47, v185, v47
	v_fmac_f16_e32 v188, 0xba95, v6
	v_mul_f16_e32 v136, 0xbbf1, v1
	v_mul_f16_e32 v137, 0xb5ac, v0
	;; [unrolled: 1-line block ×3, first 2 shown]
	v_add_f16_e32 v183, v184, v183
	v_fmamk_f16 v184, v70, 0xb3a8, v187
	v_fmamk_f16 v191, v83, 0x2fb7, v179
	;; [unrolled: 1-line block ×3, first 2 shown]
	v_mul_f16_e32 v193, 0x3bf1, v86
	v_fma_f16 v48, v0, 0xb9fd, -v189
	v_add_f16_e32 v41, v44, v41
	v_fma_f16 v44, v77, 0xb5ac, -v186
	v_add_f16_e32 v47, v188, v47
	v_fmac_f16_e32 v187, 0x33a8, v70
	v_mul_f16_e32 v142, 0xb3a8, v3
	v_sub_f16_e32 v102, v102, v136
	v_mul_f16_e32 v143, 0xb9fd, v2
	v_mul_f16_e32 v144, 0x394e, v3
	v_add_f16_e32 v183, v184, v183
	v_fmamk_f16 v184, v82, 0xb770, v190
	v_add_f16_e32 v176, v191, v176
	v_add_f16_e32 v191, v37, v192
	v_fmamk_f16 v192, v2, 0x2fb7, v193
	v_mul_f16_e32 v194, 0xba95, v87
	v_sub_f16_e32 v113, v113, v138
	v_add_f16_e32 v107, v137, v107
	v_add_f16_e32 v48, v37, v48
	v_fma_f16 v64, v2, 0x2fb7, -v193
	v_add_f16_e32 v41, v44, v41
	v_fma_f16 v44, v83, 0x2fb7, -v179
	v_add_f16_e32 v47, v187, v47
	v_fmac_f16_e32 v190, 0x3770, v82
	v_fmac_f16_e32 v88, 0xb770, v1
	v_mul_f16_e32 v148, 0x3b7b, v6
	v_add_f16_sdwa v102, v37, v102 dst_sel:DWORD dst_unused:UNUSED_PAD src0_sel:WORD_1 src1_sel:DWORD
	v_sub_f16_e32 v108, v108, v142
	v_fma_f16 v0, v0, 0x3b15, -v84
	v_mul_f16_e32 v149, 0x3b15, v4
	v_mul_f16_e32 v150, 0x3770, v6
	v_add_f16_e32 v138, v192, v191
	v_fmamk_f16 v191, v4, 0x388b, v194
	v_mul_f16_e32 v192, 0x33a8, v89
	v_add_f16_sdwa v113, v37, v113 dst_sel:DWORD dst_unused:UNUSED_PAD src0_sel:WORD_1 src1_sel:DWORD
	v_sub_f16_e32 v121, v121, v144
	v_add_f16_e32 v107, v37, v107
	v_add_f16_e32 v115, v143, v115
	;; [unrolled: 1-line block ×3, first 2 shown]
	v_fma_f16 v64, v4, 0x388b, -v194
	v_add_f16_e32 v1, v44, v41
	v_add_f16_e32 v41, v190, v47
	v_add_f16_sdwa v47, v37, v88 dst_sel:DWORD dst_unused:UNUSED_PAD src0_sel:WORD_1 src1_sel:DWORD
	v_fmac_f16_e32 v91, 0xba95, v3
	v_mul_f16_e32 v154, 0x3770, v70
	v_add_f16_e32 v102, v108, v102
	v_sub_f16_e32 v108, v112, v148
	v_add_f16_e32 v0, v37, v0
	v_fma_f16 v2, v2, 0x388b, -v62
	v_mul_f16_e32 v156, 0x2fb7, v42
	v_mul_f16_e32 v157, 0xbbf1, v70
	v_add_f16_e32 v138, v191, v138
	v_mul_f16_e32 v191, 0x3770, v92
	v_add_f16_e32 v113, v121, v113
	v_sub_f16_e32 v121, v126, v150
	v_add_f16_e32 v107, v115, v107
	v_add_f16_e32 v115, v149, v122
	;; [unrolled: 1-line block ×3, first 2 shown]
	v_fma_f16 v3, v42, 0xbbc4, -v192
	v_add_f16_e32 v37, v91, v47
	v_fmac_f16_e32 v96, 0xbbf1, v6
	v_mul_f16_e32 v163, 0xba95, v82
	v_add_f16_e32 v102, v108, v102
	v_sub_f16_e32 v108, v118, v154
	v_add_f16_e32 v0, v2, v0
	v_fma_f16 v2, v4, 0x2fb7, -v72
	v_mul_f16_e32 v164, 0xbbc4, v77
	v_mul_f16_e32 v167, 0x33a8, v82
	v_fmamk_f16 v144, v42, 0xbbc4, v192
	v_add_f16_e32 v113, v121, v113
	v_sub_f16_e32 v121, v129, v157
	v_add_f16_e32 v107, v115, v107
	v_add_f16_e32 v115, v156, v125
	;; [unrolled: 1-line block ×3, first 2 shown]
	v_fma_f16 v4, v77, 0x3b15, -v191
	v_add_f16_e32 v6, v96, v37
	v_fmac_f16_e32 v95, 0xbb7b, v70
	v_mul_f16_e32 v169, 0x3770, v85
	v_mul_f16_e32 v172, 0xb94e, v85
	v_add_f16_e32 v102, v108, v102
	v_sub_f16_e32 v108, v123, v163
	v_add_f16_e32 v183, v184, v183
	v_mul_f16_e32 v184, 0xb5ac, v104
	v_add_f16_e32 v0, v2, v0
	v_fma_f16 v2, v42, 0xb5ac, -v65
	v_mul_f16_e32 v175, 0x388b, v83
	v_mul_f16_e32 v178, 0x3a95, v85
	v_add_f16_e32 v126, v144, v138
	v_fmamk_f16 v137, v77, 0x3b15, v191
	v_mul_f16_e32 v138, 0xbb7b, v97
	v_add_f16_e32 v113, v121, v113
	v_sub_f16_e32 v121, v131, v167
	v_add_f16_e32 v107, v115, v107
	v_add_f16_e32 v115, v164, v128
	;; [unrolled: 1-line block ×4, first 2 shown]
	v_mov_b32_e32 v6, 39
	v_add_f16_e32 v102, v108, v102
	v_sub_f16_e32 v108, v127, v172
	v_sub_f16_e32 v103, v120, v169
	v_fmac_f16_e32 v174, 0xbb7b, v82
	v_fmamk_f16 v195, v85, 0x3b7b, v184
	v_fmac_f16_e32 v184, 0xbb7b, v85
	v_fmac_f16_e32 v99, 0xb94e, v82
	v_add_f16_e32 v0, v2, v0
	v_fma_f16 v2, v77, 0xb9fd, -v63
	v_add_f16_e32 v126, v137, v126
	v_fmamk_f16 v129, v83, 0xb5ac, v138
	v_add_f16_e32 v113, v121, v113
	v_sub_f16_e32 v121, v132, v178
	v_add_f16_e32 v107, v115, v107
	v_add_f16_e32 v112, v175, v130
	v_mul_u32_u24_sdwa v6, v61, v6 dst_sel:DWORD dst_unused:UNUSED_PAD src0_sel:WORD_0 src1_sel:DWORD
	v_add_f16_e32 v102, v108, v102
	v_add_f16_e32 v93, v103, v93
	;; [unrolled: 1-line block ×3, first 2 shown]
	v_fmac_f16_e32 v165, 0x3bf1, v85
	v_add_f16_e32 v37, v184, v41
	v_fma_f16 v41, v83, 0xb5ac, -v138
	v_add_f16_e32 v4, v99, v4
	v_fmac_f16_e32 v73, 0xb3a8, v85
	v_add_f16_e32 v0, v2, v0
	v_fma_f16 v2, v83, 0xbbc4, -v45
	v_add_f16_e32 v183, v195, v183
	v_add_f16_e32 v122, v129, v126
	v_add_f16_e32 v113, v121, v113
	v_add_f16_e32 v107, v112, v107
	v_add_lshl_u32 v6, v6, v60, 2
	v_pack_b32_f16 v5, v7, v5
	v_pack_b32_f16 v7, v43, v46
	v_add_f16_e32 v40, v165, v40
	v_pack_b32_f16 v42, v90, v93
	v_pack_b32_f16 v43, v98, v102
	v_add_f16_e32 v3, v41, v3
	v_add_f16_e32 v4, v73, v4
	;; [unrolled: 1-line block ×3, first 2 shown]
	ds_write2_b32 v6, v5, v7 offset1:3
	ds_write2_b32 v6, v42, v43 offset0:6 offset1:9
	v_pack_b32_f16 v2, v107, v113
	v_pack_b32_f16 v5, v122, v183
	v_pack_b32_f16 v7, v176, v160
	v_pack_b32_f16 v1, v1, v40
	v_pack_b32_f16 v3, v3, v37
	v_perm_b32 v37, v10, v8, 0x5040100
	v_perm_b32 v40, v39, v11, 0x5040100
	;; [unrolled: 1-line block ×3, first 2 shown]
	v_pack_b32_f16 v0, v0, v4
	ds_write2_b32 v6, v2, v5 offset0:12 offset1:15
	ds_write2_b32 v6, v7, v1 offset0:18 offset1:21
	;; [unrolled: 1-line block ×4, first 2 shown]
	ds_write_b32 v6, v0 offset:144
.LBB0_25:
	s_or_b32 exec_lo, exec_lo, s1
	v_add_nc_u32_e32 v0, 0x300, v49
	v_add_nc_u32_e32 v4, 0xc00, v49
	;; [unrolled: 1-line block ×3, first 2 shown]
	s_waitcnt lgkmcnt(0)
	s_barrier
	buffer_gl0_inv
	ds_read2_b32 v[2:3], v49 offset1:117
	ds_read2_b32 v[0:1], v0 offset0:42 offset1:237
	ds_read2_b32 v[6:7], v4 offset0:90 offset1:207
	;; [unrolled: 1-line block ×3, first 2 shown]
	ds_read_b32 v37, v49 offset:4368
	s_and_saveexec_b32 s0, vcc_lo
	s_cbranch_execz .LBB0_27
; %bb.26:
	ds_read_b32 v8, v49 offset:1404
	ds_read_b32 v11, v49 offset:3120
	;; [unrolled: 1-line block ×3, first 2 shown]
	s_waitcnt lgkmcnt(2)
	v_lshrrev_b32_e32 v10, 16, v8
	s_waitcnt lgkmcnt(1)
	v_lshrrev_b32_e32 v39, 16, v11
	;; [unrolled: 2-line block ×3, first 2 shown]
.LBB0_27:
	s_or_b32 exec_lo, exec_lo, s0
	s_waitcnt lgkmcnt(3)
	v_lshrrev_b32_e32 v41, 16, v1
	s_waitcnt lgkmcnt(2)
	v_lshrrev_b32_e32 v42, 16, v6
	s_waitcnt lgkmcnt(1)
	v_lshrrev_b32_e32 v44, 16, v4
	v_mul_f16_sdwa v60, v35, v1 dst_sel:DWORD dst_unused:UNUSED_PAD src0_sel:WORD_1 src1_sel:DWORD
	v_lshrrev_b32_e32 v45, 16, v7
	v_mul_f16_sdwa v47, v35, v41 dst_sel:DWORD dst_unused:UNUSED_PAD src0_sel:WORD_1 src1_sel:DWORD
	v_mul_f16_sdwa v62, v36, v42 dst_sel:DWORD dst_unused:UNUSED_PAD src0_sel:WORD_1 src1_sel:DWORD
	v_lshrrev_b32_e32 v48, 16, v5
	s_waitcnt lgkmcnt(0)
	v_lshrrev_b32_e32 v61, 16, v37
	v_lshrrev_b32_e32 v40, 16, v2
	v_fmac_f16_e32 v47, v35, v1
	v_mul_f16_sdwa v1, v36, v6 dst_sel:DWORD dst_unused:UNUSED_PAD src0_sel:WORD_1 src1_sel:DWORD
	v_fma_f16 v35, v35, v41, -v60
	v_mul_f16_sdwa v41, v33, v44 dst_sel:DWORD dst_unused:UNUSED_PAD src0_sel:WORD_1 src1_sel:DWORD
	v_fmac_f16_e32 v62, v36, v6
	v_mul_f16_sdwa v6, v33, v4 dst_sel:DWORD dst_unused:UNUSED_PAD src0_sel:WORD_1 src1_sel:DWORD
	v_fma_f16 v1, v36, v42, -v1
	v_mul_f16_sdwa v36, v34, v45 dst_sel:DWORD dst_unused:UNUSED_PAD src0_sel:WORD_1 src1_sel:DWORD
	;; [unrolled: 4-line block ×4, first 2 shown]
	v_fmac_f16_e32 v33, v29, v5
	v_mul_f16_sdwa v5, v30, v37 dst_sel:DWORD dst_unused:UNUSED_PAD src0_sel:WORD_1 src1_sel:DWORD
	v_fma_f16 v7, v29, v48, -v7
	v_add_f16_e32 v29, v47, v62
	v_fmac_f16_e32 v34, v30, v37
	v_add_f16_e32 v37, v2, v47
	v_fma_f16 v5, v30, v61, -v5
	v_add_f16_e32 v30, v35, v1
	v_fma_f16 v2, -0.5, v29, v2
	v_sub_f16_e32 v29, v35, v1
	v_add_f16_e32 v35, v40, v35
	v_lshrrev_b32_e32 v43, 16, v3
	v_fmac_f16_e32 v40, -0.5, v30
	v_sub_f16_e32 v30, v47, v62
	v_fmamk_f16 v42, v29, 0xbaee, v2
	v_fmac_f16_e32 v2, 0x3aee, v29
	v_add_f16_e32 v29, v41, v36
	v_add_f16_e32 v1, v35, v1
	v_fmamk_f16 v35, v30, 0x3aee, v40
	v_fmac_f16_e32 v40, 0xbaee, v30
	v_add_f16_e32 v30, v6, v4
	v_add_f16_e32 v44, v3, v41
	v_fmac_f16_e32 v3, -0.5, v29
	v_sub_f16_e32 v29, v6, v4
	v_add_f16_e32 v6, v43, v6
	v_fmac_f16_e32 v43, -0.5, v30
	v_sub_f16_e32 v30, v41, v36
	v_lshrrev_b32_e32 v46, 16, v0
	v_add_f16_e32 v44, v44, v36
	v_add_f16_e32 v4, v6, v4
	;; [unrolled: 1-line block ×3, first 2 shown]
	v_fmamk_f16 v36, v29, 0xbaee, v3
	v_fmac_f16_e32 v3, 0x3aee, v29
	v_fmamk_f16 v29, v30, 0x3aee, v43
	v_fmac_f16_e32 v43, 0xbaee, v30
	v_add_f16_e32 v30, v7, v5
	v_add_f16_e32 v37, v37, v62
	;; [unrolled: 1-line block ×3, first 2 shown]
	v_fmac_f16_e32 v0, -0.5, v6
	v_sub_f16_e32 v6, v7, v5
	v_add_f16_e32 v7, v46, v7
	v_fmac_f16_e32 v46, -0.5, v30
	v_sub_f16_e32 v30, v33, v34
	v_pack_b32_f16 v1, v37, v1
	v_add_f16_e32 v33, v41, v34
	v_add_f16_e32 v5, v7, v5
	v_pack_b32_f16 v7, v42, v35
	v_fmamk_f16 v34, v6, 0xbaee, v0
	v_fmac_f16_e32 v0, 0x3aee, v6
	v_fmamk_f16 v6, v30, 0x3aee, v46
	v_fmac_f16_e32 v46, 0xbaee, v30
	s_barrier
	buffer_gl0_inv
	ds_write2_b32 v69, v1, v7 offset1:39
	v_pack_b32_f16 v1, v2, v40
	v_pack_b32_f16 v2, v44, v4
	;; [unrolled: 1-line block ×7, first 2 shown]
	ds_write_b32 v69, v1 offset:312
	ds_write2_b32 v68, v2, v4 offset1:39
	ds_write_b32 v68, v3 offset:312
	ds_write2_b32 v67, v5, v6 offset1:39
	ds_write_b32 v67, v0 offset:312
	s_and_saveexec_b32 s0, vcc_lo
	s_cbranch_execz .LBB0_29
; %bb.28:
	v_mul_f16_sdwa v0, v27, v11 dst_sel:DWORD dst_unused:UNUSED_PAD src0_sel:WORD_1 src1_sel:DWORD
	v_mul_f16_sdwa v1, v28, v9 dst_sel:DWORD dst_unused:UNUSED_PAD src0_sel:WORD_1 src1_sel:DWORD
	;; [unrolled: 1-line block ×4, first 2 shown]
	v_mov_b32_e32 v5, 2
	v_fma_f16 v0, v27, v39, -v0
	v_fma_f16 v1, v28, v38, -v1
	v_fmac_f16_e32 v2, v27, v11
	v_fmac_f16_e32 v3, v28, v9
	v_add_f16_e32 v9, v10, v0
	v_add_f16_e32 v4, v0, v1
	v_sub_f16_e32 v0, v0, v1
	v_add_f16_e32 v6, v2, v3
	v_sub_f16_e32 v7, v2, v3
	v_add_f16_e32 v2, v8, v2
	v_fma_f16 v4, -0.5, v4, v10
	v_add_f16_e32 v1, v9, v1
	v_fma_f16 v6, -0.5, v6, v8
	v_add_f16_e32 v2, v2, v3
	v_fmamk_f16 v8, v7, 0xbaee, v4
	v_fmac_f16_e32 v4, 0x3aee, v7
	v_fmamk_f16 v7, v0, 0x3aee, v6
	v_fmac_f16_e32 v6, 0xbaee, v0
	v_lshlrev_b32_sdwa v0, v5, v66 dst_sel:DWORD dst_unused:UNUSED_PAD src0_sel:DWORD src1_sel:WORD_0
	v_pack_b32_f16 v1, v2, v1
	v_pack_b32_f16 v3, v7, v8
	;; [unrolled: 1-line block ×3, first 2 shown]
	ds_write2_b32 v0, v1, v2 offset1:39
	ds_write_b32 v0, v3 offset:312
.LBB0_29:
	s_or_b32 exec_lo, exec_lo, s0
	s_waitcnt lgkmcnt(0)
	s_barrier
	buffer_gl0_inv
	v_add_nc_u32_e32 v0, 0x200, v49
	ds_read2_b32 v[4:5], v49 offset1:117
	v_add_nc_u32_e32 v1, 0x600, v49
	v_add_nc_u32_e32 v2, 0xa00, v49
	;; [unrolled: 1-line block ×3, first 2 shown]
	ds_read2_b32 v[6:7], v0 offset0:106 offset1:223
	ds_read_b32 v29, v49 offset:4680
	ds_read2_b32 v[8:9], v1 offset0:84 offset1:201
	ds_read2_b32 v[10:11], v2 offset0:62 offset1:179
	;; [unrolled: 1-line block ×3, first 2 shown]
	s_mov_b32 s4, 0x768d3a48
	s_mov_b32 s5, 0x3f4975f4
	s_waitcnt lgkmcnt(5)
	v_lshrrev_b32_e32 v30, 16, v5
	v_mul_f16_sdwa v34, v16, v5 dst_sel:DWORD dst_unused:UNUSED_PAD src0_sel:WORD_1 src1_sel:DWORD
	s_waitcnt lgkmcnt(4)
	v_lshrrev_b32_e32 v35, 16, v6
	v_lshrrev_b32_e32 v36, 16, v7
	v_mul_f16_sdwa v43, v16, v30 dst_sel:DWORD dst_unused:UNUSED_PAD src0_sel:WORD_1 src1_sel:DWORD
	s_waitcnt lgkmcnt(2)
	v_lshrrev_b32_e32 v37, 16, v8
	v_lshrrev_b32_e32 v38, 16, v9
	v_fma_f16 v30, v16, v30, -v34
	v_mul_f16_sdwa v34, v17, v6 dst_sel:DWORD dst_unused:UNUSED_PAD src0_sel:WORD_1 src1_sel:DWORD
	v_mul_f16_sdwa v46, v17, v35 dst_sel:DWORD dst_unused:UNUSED_PAD src0_sel:WORD_1 src1_sel:DWORD
	;; [unrolled: 1-line block ×3, first 2 shown]
	v_fmac_f16_e32 v43, v16, v5
	s_waitcnt lgkmcnt(1)
	v_lshrrev_b32_e32 v39, 16, v10
	v_mul_f16_sdwa v44, v18, v7 dst_sel:DWORD dst_unused:UNUSED_PAD src0_sel:WORD_1 src1_sel:DWORD
	v_mul_f16_sdwa v45, v19, v8 dst_sel:DWORD dst_unused:UNUSED_PAD src0_sel:WORD_1 src1_sel:DWORD
	;; [unrolled: 1-line block ×3, first 2 shown]
	v_fma_f16 v16, v17, v35, -v34
	v_fmac_f16_e32 v46, v17, v6
	v_fmac_f16_e32 v47, v18, v7
	v_mul_f16_sdwa v7, v12, v38 dst_sel:DWORD dst_unused:UNUSED_PAD src0_sel:WORD_1 src1_sel:DWORD
	v_add_f16_e32 v17, v4, v43
	v_fma_f16 v6, v18, v36, -v44
	v_fmac_f16_e32 v5, v19, v8
	v_fma_f16 v8, v19, v37, -v45
	v_mul_f16_sdwa v18, v12, v9 dst_sel:DWORD dst_unused:UNUSED_PAD src0_sel:WORD_1 src1_sel:DWORD
	v_mul_f16_sdwa v19, v13, v39 dst_sel:DWORD dst_unused:UNUSED_PAD src0_sel:WORD_1 src1_sel:DWORD
	v_fmac_f16_e32 v7, v12, v9
	v_add_f16_sdwa v9, v4, v30 dst_sel:DWORD dst_unused:UNUSED_PAD src0_sel:WORD_1 src1_sel:DWORD
	v_add_f16_e32 v17, v17, v46
	v_lshrrev_b32_e32 v40, 16, v11
	v_fmac_f16_e32 v19, v13, v10
	v_mul_f16_sdwa v10, v13, v10 dst_sel:DWORD dst_unused:UNUSED_PAD src0_sel:WORD_1 src1_sel:DWORD
	v_add_f16_e32 v9, v9, v16
	v_add_f16_e32 v17, v17, v47
	s_waitcnt lgkmcnt(0)
	v_lshrrev_b32_e32 v41, 16, v27
	v_fma_f16 v12, v12, v38, -v18
	v_mul_f16_sdwa v18, v14, v40 dst_sel:DWORD dst_unused:UNUSED_PAD src0_sel:WORD_1 src1_sel:DWORD
	v_mul_f16_sdwa v34, v14, v11 dst_sel:DWORD dst_unused:UNUSED_PAD src0_sel:WORD_1 src1_sel:DWORD
	v_fma_f16 v10, v13, v39, -v10
	v_add_f16_e32 v9, v9, v6
	v_add_f16_e32 v13, v17, v5
	v_lshrrev_b32_e32 v42, 16, v28
	v_fmac_f16_e32 v18, v14, v11
	v_fma_f16 v11, v14, v40, -v34
	v_mul_f16_sdwa v14, v15, v41 dst_sel:DWORD dst_unused:UNUSED_PAD src0_sel:WORD_1 src1_sel:DWORD
	v_add_f16_e32 v9, v9, v8
	v_add_f16_e32 v13, v13, v7
	v_mul_f16_sdwa v17, v15, v27 dst_sel:DWORD dst_unused:UNUSED_PAD src0_sel:WORD_1 src1_sel:DWORD
	v_lshrrev_b32_e32 v33, 16, v29
	v_mul_f16_sdwa v34, v31, v42 dst_sel:DWORD dst_unused:UNUSED_PAD src0_sel:WORD_1 src1_sel:DWORD
	v_fmac_f16_e32 v14, v15, v27
	v_add_f16_e32 v9, v9, v12
	v_add_f16_e32 v13, v13, v19
	v_fma_f16 v15, v15, v41, -v17
	v_mul_f16_sdwa v17, v32, v29 dst_sel:DWORD dst_unused:UNUSED_PAD src0_sel:WORD_1 src1_sel:DWORD
	v_fmac_f16_e32 v34, v31, v28
	v_add_f16_e32 v9, v9, v10
	v_add_f16_e32 v13, v13, v18
	v_mul_f16_sdwa v27, v31, v28 dst_sel:DWORD dst_unused:UNUSED_PAD src0_sel:WORD_1 src1_sel:DWORD
	v_mul_f16_sdwa v28, v32, v33 dst_sel:DWORD dst_unused:UNUSED_PAD src0_sel:WORD_1 src1_sel:DWORD
	v_fma_f16 v17, v32, v33, -v17
	v_add_f16_e32 v9, v9, v11
	v_add_f16_e32 v13, v13, v14
	v_fma_f16 v27, v31, v42, -v27
	v_fmac_f16_e32 v28, v32, v29
	v_sub_f16_e32 v29, v30, v17
	v_add_f16_e32 v9, v9, v15
	v_add_f16_e32 v13, v13, v34
	;; [unrolled: 1-line block ×4, first 2 shown]
	v_mul_f16_e32 v32, 0xb853, v29
	v_sub_f16_e32 v62, v16, v27
	v_add_f16_e32 v9, v9, v27
	v_sub_f16_e32 v33, v43, v28
	v_mul_f16_e32 v35, 0x3abb, v30
	v_fmamk_f16 v36, v31, 0x3abb, v32
	v_add_f16_e32 v13, v13, v28
	v_mul_f16_e32 v28, 0xbb47, v29
	v_mul_f16_e32 v38, 0x36a6, v30
	;; [unrolled: 1-line block ×8, first 2 shown]
	v_add_f16_e32 v64, v46, v34
	v_mul_f16_e32 v65, 0xbb47, v62
	v_add_f16_e32 v16, v16, v27
	v_add_f16_e32 v9, v9, v17
	v_fmamk_f16 v17, v33, 0x3853, v35
	v_add_f16_e32 v36, v4, v36
	v_fma_f16 v32, v31, 0x3abb, -v32
	v_fmac_f16_e32 v35, 0xb853, v33
	v_fmamk_f16 v37, v31, 0x36a6, v28
	v_fmamk_f16 v40, v33, 0x3b47, v38
	v_fma_f16 v28, v31, 0x36a6, -v28
	v_fmac_f16_e32 v38, 0xbb47, v33
	v_fmamk_f16 v41, v31, 0xb08e, v39
	v_fmamk_f16 v43, v33, 0x3beb, v42
	;; [unrolled: 4-line block ×4, first 2 shown]
	v_fma_f16 v27, v31, 0xbbad, -v29
	v_fmac_f16_e32 v30, 0xb482, v33
	v_sub_f16_e32 v29, v46, v34
	v_fmamk_f16 v31, v64, 0x36a6, v65
	v_mul_f16_e32 v33, 0x36a6, v16
	v_add_f16_sdwa v17, v4, v17 dst_sel:DWORD dst_unused:UNUSED_PAD src0_sel:WORD_1 src1_sel:DWORD
	v_add_f16_e32 v32, v4, v32
	v_add_f16_sdwa v35, v4, v35 dst_sel:DWORD dst_unused:UNUSED_PAD src0_sel:WORD_1 src1_sel:DWORD
	v_add_f16_e32 v37, v4, v37
	;; [unrolled: 2-line block ×10, first 2 shown]
	v_fmamk_f16 v31, v29, 0x3b47, v33
	v_mul_f16_e32 v36, 0xba0c, v62
	v_fma_f16 v46, v64, 0x36a6, -v65
	v_fmac_f16_e32 v33, 0xbb47, v29
	v_mul_f16_e32 v63, 0xb93d, v16
	v_add_f16_e32 v17, v31, v17
	v_fmamk_f16 v31, v64, 0xb93d, v36
	v_add_f16_e32 v32, v46, v32
	v_add_f16_e32 v33, v33, v35
	v_fmamk_f16 v35, v29, 0x3a0c, v63
	v_mul_f16_e32 v46, 0x3482, v62
	v_add_f16_e32 v31, v31, v37
	v_fma_f16 v36, v64, 0xb93d, -v36
	v_fmac_f16_e32 v63, 0xba0c, v29
	v_add_f16_e32 v35, v35, v40
	v_fmamk_f16 v37, v64, 0xbbad, v46
	v_mul_f16_e32 v40, 0xbbad, v16
	v_add_f16_e32 v28, v36, v28
	v_add_f16_e32 v36, v63, v38
	v_mul_f16_e32 v38, 0x3beb, v62
	v_add_f16_e32 v37, v37, v41
	v_fmamk_f16 v41, v29, 0xb482, v40
	v_mul_f16_e32 v65, 0xb08e, v16
	v_fma_f16 v46, v64, 0xbbad, -v46
	v_fmamk_f16 v63, v64, 0xb08e, v38
	v_mul_f16_e32 v16, 0x3abb, v16
	v_add_f16_e32 v41, v41, v43
	v_fmamk_f16 v43, v29, 0xbbeb, v65
	v_fma_f16 v38, v64, 0xb08e, -v38
	v_fmac_f16_e32 v65, 0x3beb, v29
	v_fmac_f16_e32 v40, 0x3482, v29
	v_add_f16_e32 v39, v46, v39
	v_mul_f16_e32 v46, 0x3853, v62
	v_add_f16_e32 v43, v43, v60
	v_fmamk_f16 v60, v29, 0xb853, v16
	v_add_f16_e32 v38, v38, v44
	v_add_f16_e32 v44, v65, v45
	v_sub_f16_e32 v45, v6, v15
	v_add_f16_e32 v6, v6, v15
	v_add_f16_e32 v40, v40, v42
	;; [unrolled: 1-line block ×3, first 2 shown]
	v_fmamk_f16 v48, v64, 0x3abb, v46
	v_add_f16_e32 v34, v60, v34
	v_add_f16_e32 v60, v47, v14
	v_mul_f16_e32 v15, 0xbbeb, v45
	v_fma_f16 v46, v64, 0x3abb, -v46
	v_fmac_f16_e32 v16, 0x3853, v29
	v_sub_f16_e32 v14, v47, v14
	v_mul_f16_e32 v29, 0xb08e, v6
	v_fmamk_f16 v47, v60, 0xb08e, v15
	v_add_f16_e32 v27, v46, v27
	v_add_f16_e32 v4, v16, v4
	v_mul_f16_e32 v16, 0x3482, v45
	v_fmamk_f16 v46, v14, 0x3beb, v29
	v_add_f16_e32 v30, v47, v30
	v_fma_f16 v15, v60, 0xb08e, -v15
	v_fmac_f16_e32 v29, 0xbbeb, v14
	v_fmamk_f16 v47, v60, 0xbbad, v16
	v_add_f16_e32 v17, v46, v17
	v_mul_f16_e32 v46, 0xbbad, v6
	v_add_f16_e32 v15, v15, v32
	v_add_f16_e32 v29, v29, v33
	;; [unrolled: 1-line block ×3, first 2 shown]
	v_mul_f16_e32 v32, 0x3b47, v45
	v_fmamk_f16 v33, v14, 0xb482, v46
	v_mul_f16_e32 v47, 0x36a6, v6
	v_add_f16_e32 v48, v48, v61
	v_fma_f16 v16, v60, 0xbbad, -v16
	v_fmac_f16_e32 v46, 0x3482, v14
	v_fmamk_f16 v61, v60, 0x36a6, v32
	v_add_f16_e32 v33, v33, v35
	v_fmamk_f16 v35, v14, 0xbb47, v47
	v_add_f16_e32 v16, v16, v28
	v_add_f16_e32 v28, v46, v36
	;; [unrolled: 1-line block ×3, first 2 shown]
	v_mul_f16_e32 v37, 0xb853, v45
	v_fma_f16 v32, v60, 0x36a6, -v32
	v_fmac_f16_e32 v47, 0x3b47, v14
	v_add_f16_e32 v35, v35, v41
	v_mul_f16_e32 v41, 0x3abb, v6
	v_fmamk_f16 v46, v60, 0x3abb, v37
	v_add_f16_e32 v32, v32, v39
	v_add_f16_e32 v39, v47, v40
	v_mul_f16_e32 v40, 0xba0c, v45
	v_fmamk_f16 v45, v14, 0x3853, v41
	v_fma_f16 v37, v60, 0x3abb, -v37
	v_fmac_f16_e32 v41, 0xb853, v14
	v_add_f16_e32 v42, v46, v42
	v_fmamk_f16 v46, v60, 0xb93d, v40
	v_mul_f16_e32 v6, 0xb93d, v6
	v_add_f16_e32 v37, v37, v38
	v_add_f16_e32 v38, v41, v44
	v_sub_f16_e32 v44, v8, v11
	v_add_f16_e32 v8, v8, v11
	v_add_f16_e32 v43, v45, v43
	;; [unrolled: 1-line block ×3, first 2 shown]
	v_fmamk_f16 v45, v14, 0x3a0c, v6
	v_fma_f16 v40, v60, 0xb93d, -v40
	v_add_f16_e32 v11, v5, v18
	v_mul_f16_e32 v46, 0xba0c, v44
	v_fmac_f16_e32 v6, 0xba0c, v14
	v_sub_f16_e32 v5, v5, v18
	v_mul_f16_e32 v14, 0xb93d, v8
	v_add_f16_e32 v18, v45, v34
	v_fmamk_f16 v34, v11, 0xb93d, v46
	v_add_f16_e32 v27, v40, v27
	v_add_f16_e32 v4, v6, v4
	v_fmamk_f16 v6, v5, 0x3a0c, v14
	v_mul_f16_e32 v40, 0x3beb, v44
	v_fmac_f16_e32 v14, 0xba0c, v5
	v_add_f16_e32 v30, v34, v30
	v_fma_f16 v34, v11, 0xb93d, -v46
	v_add_f16_e32 v6, v6, v17
	v_fmamk_f16 v17, v11, 0xb08e, v40
	v_mul_f16_e32 v45, 0xb08e, v8
	v_add_f16_e32 v14, v14, v29
	v_mul_f16_e32 v29, 0xb853, v44
	v_add_f16_e32 v15, v34, v15
	v_add_f16_e32 v17, v17, v31
	v_fmamk_f16 v31, v5, 0xbbeb, v45
	v_fma_f16 v34, v11, 0xb08e, -v40
	v_fmamk_f16 v40, v11, 0x3abb, v29
	v_mul_f16_e32 v46, 0x3abb, v8
	v_fma_f16 v29, v11, 0x3abb, -v29
	v_add_f16_e32 v31, v31, v33
	v_add_f16_e32 v16, v34, v16
	;; [unrolled: 1-line block ×3, first 2 shown]
	v_fmamk_f16 v34, v5, 0x3853, v46
	v_mul_f16_e32 v36, 0xb482, v44
	v_mul_f16_e32 v40, 0xbbad, v8
	;; [unrolled: 1-line block ×3, first 2 shown]
	v_add_f16_e32 v29, v29, v32
	v_add_f16_e32 v34, v34, v35
	v_fmamk_f16 v35, v11, 0xbbad, v36
	v_fma_f16 v36, v11, 0xbbad, -v36
	v_fmamk_f16 v32, v5, 0x3482, v40
	v_fmac_f16_e32 v40, 0xb482, v5
	v_mul_f16_e32 v8, 0x36a6, v8
	v_add_f16_e32 v35, v35, v42
	v_fmamk_f16 v42, v11, 0x36a6, v44
	v_add_f16_e32 v36, v36, v37
	v_sub_f16_e32 v37, v12, v10
	v_add_f16_e32 v32, v32, v43
	v_add_f16_e32 v38, v40, v38
	;; [unrolled: 1-line block ×4, first 2 shown]
	v_mul_f16_e32 v43, 0xb482, v37
	v_add_f16_e32 v10, v12, v10
	v_fmac_f16_e32 v45, 0x3beb, v5
	v_fmac_f16_e32 v46, 0xb853, v5
	v_fmamk_f16 v41, v5, 0xbb47, v8
	v_fmac_f16_e32 v8, 0x3b47, v5
	v_sub_f16_e32 v5, v7, v19
	v_fmamk_f16 v7, v42, 0xbbad, v43
	v_mul_f16_e32 v12, 0xbbad, v10
	v_fma_f16 v11, v11, 0x36a6, -v44
	v_add_f16_e32 v4, v8, v4
	v_mul_f16_e32 v19, 0x3853, v37
	v_add_f16_e32 v7, v7, v30
	v_fmamk_f16 v8, v5, 0x3482, v12
	v_fmac_f16_e32 v12, 0xb482, v5
	v_mul_f16_e32 v30, 0x3abb, v10
	v_add_f16_e32 v11, v11, v27
	v_fma_f16 v27, v42, 0xbbad, -v43
	v_add_f16_e32 v6, v8, v6
	v_fmamk_f16 v8, v42, 0x3abb, v19
	v_add_f16_e32 v12, v12, v14
	v_fmamk_f16 v14, v5, 0xb853, v30
	v_add_f16_e32 v28, v45, v28
	v_add_f16_e32 v15, v27, v15
	v_mul_f16_e32 v27, 0xba0c, v37
	v_add_f16_e32 v8, v8, v17
	v_fma_f16 v17, v42, 0x3abb, -v19
	v_fmac_f16_e32 v30, 0x3853, v5
	v_add_f16_e32 v14, v14, v31
	v_mul_f16_e32 v31, 0xb93d, v10
	v_fmamk_f16 v19, v42, 0xb93d, v27
	v_add_f16_e32 v16, v17, v16
	v_add_f16_e32 v17, v30, v28
	v_mul_f16_e32 v28, 0x3b47, v37
	v_fmamk_f16 v30, v5, 0x3a0c, v31
	v_add_f16_e32 v39, v46, v39
	v_add_f16_e32 v18, v41, v18
	;; [unrolled: 1-line block ×3, first 2 shown]
	v_fma_f16 v27, v42, 0xb93d, -v27
	v_fmac_f16_e32 v31, 0xba0c, v5
	v_fmamk_f16 v33, v42, 0x36a6, v28
	v_mul_f16_e32 v41, 0x36a6, v10
	v_add_f16_e32 v30, v30, v34
	v_fma_f16 v28, v42, 0x36a6, -v28
	v_mul_f16_e32 v34, 0xbbeb, v37
	v_mul_f16_e32 v10, 0xb08e, v10
	v_add_f16_e32 v27, v27, v29
	v_add_f16_e32 v29, v31, v39
	;; [unrolled: 1-line block ×3, first 2 shown]
	v_fmamk_f16 v33, v5, 0xbb47, v41
	v_add_f16_e32 v28, v28, v36
	v_fmamk_f16 v35, v42, 0xb08e, v34
	v_fmamk_f16 v36, v5, 0x3beb, v10
	v_fmac_f16_e32 v41, 0x3b47, v5
	v_fma_f16 v34, v42, 0xb08e, -v34
	v_fmac_f16_e32 v10, 0xbbeb, v5
	v_pack_b32_f16 v5, v13, v9
	v_pack_b32_f16 v6, v7, v6
	v_add_f16_e32 v32, v33, v32
	v_add_f16_e32 v7, v35, v40
	;; [unrolled: 1-line block ×6, first 2 shown]
	ds_write2_b32 v49, v5, v6 offset1:117
	v_pack_b32_f16 v5, v8, v14
	v_pack_b32_f16 v6, v19, v30
	;; [unrolled: 1-line block ×9, first 2 shown]
	ds_write2_b32 v0, v5, v6 offset0:106 offset1:223
	ds_write2_b32 v1, v8, v7 offset0:84 offset1:201
	;; [unrolled: 1-line block ×4, first 2 shown]
	ds_write_b32 v49, v12 offset:4680
	s_waitcnt lgkmcnt(0)
	s_barrier
	buffer_gl0_inv
	ds_read2_b32 v[2:3], v49 offset1:117
	s_waitcnt lgkmcnt(0)
	v_lshrrev_b32_e32 v4, 16, v2
	v_mul_f16_sdwa v0, v59, v4 dst_sel:DWORD dst_unused:UNUSED_PAD src0_sel:WORD_1 src1_sel:DWORD
	v_fmac_f16_e32 v0, v59, v2
	v_mul_f16_sdwa v2, v59, v2 dst_sel:DWORD dst_unused:UNUSED_PAD src0_sel:WORD_1 src1_sel:DWORD
	v_cvt_f32_f16_e32 v0, v0
	v_fma_f16 v2, v59, v4, -v2
	v_cvt_f64_f32_e32 v[0:1], v0
	v_cvt_f32_f16_e32 v2, v2
	v_cvt_f64_f32_e32 v[4:5], v2
	v_mul_f64 v[1:2], v[0:1], s[4:5]
	v_add_nc_u32_e32 v0, 0x300, v49
	v_mul_f64 v[4:5], v[4:5], s[4:5]
	v_and_or_b32 v6, 0x1ff, v2, v1
	ds_read2_b32 v[0:1], v0 offset0:42 offset1:237
	v_lshrrev_b32_e32 v7, 8, v2
	v_bfe_u32 v8, v2, 20, 11
	v_cmp_ne_u32_e64 s0, 0, v6
	v_and_or_b32 v4, 0x1ff, v5, v4
	v_lshrrev_b32_e32 v12, 8, v5
	v_bfe_u32 v14, v5, 20, 11
	v_add_nc_u32_e32 v16, 0xfffffc10, v8
	v_cndmask_b32_e64 v6, 0, 1, s0
	v_cmp_ne_u32_e64 s0, 0, v4
	v_cmp_eq_u32_e64 s2, 0x40f, v16
	v_and_or_b32 v10, 0xffe, v7, v6
	v_sub_nc_u32_e32 v6, 0x3f1, v8
	v_cndmask_b32_e64 v4, 0, 1, s0
	v_or_b32_e32 v7, 0x1000, v10
	v_med3_i32 v6, v6, 0, 13
	s_waitcnt lgkmcnt(0)
	v_lshrrev_b32_e32 v11, 16, v1
	v_and_or_b32 v15, 0xffe, v12, v4
	v_sub_nc_u32_e32 v4, 0x3f1, v14
	v_lshl_or_b32 v17, v16, 12, v10
	v_lshrrev_b32_e32 v9, v6, v7
	v_mul_f16_sdwa v13, v58, v11 dst_sel:DWORD dst_unused:UNUSED_PAD src0_sel:WORD_1 src1_sel:DWORD
	v_or_b32_e32 v12, 0x1000, v15
	v_med3_i32 v4, v4, 0, 13
	v_lshlrev_b32_e32 v6, v6, v9
	v_fmac_f16_e32 v13, v58, v1
	v_mul_f16_sdwa v1, v58, v1 dst_sel:DWORD dst_unused:UNUSED_PAD src0_sel:WORD_1 src1_sel:DWORD
	v_lshrrev_b32_e32 v18, v4, v12
	v_cmp_ne_u32_e64 s0, v6, v7
	v_cvt_f32_f16_e32 v7, v13
	v_fma_f16 v1, v58, v11, -v1
	v_cndmask_b32_e64 v6, 0, 1, s0
	v_cmp_gt_i32_e64 s0, 1, v16
	v_cvt_f32_f16_e32 v1, v1
	v_or_b32_e32 v13, v9, v6
	v_cvt_f64_f32_e32 v[6:7], v7
	v_mad_u64_u32 v[8:9], null, s10, v26, 0
	v_cndmask_b32_e64 v13, v17, v13, s0
	v_lshlrev_b32_e32 v17, v4, v18
	v_and_b32_e32 v19, 7, v13
	v_cmp_ne_u32_e64 s0, v17, v12
	v_mov_b32_e32 v4, v9
	v_lshrrev_b32_e32 v12, 2, v13
	v_add_nc_u32_e32 v17, 0xfffffc10, v14
	v_cmp_eq_u32_e64 s1, 3, v19
	v_cndmask_b32_e64 v9, 0, 1, s0
	v_cmp_lt_i32_e64 s0, 5, v19
	v_lshl_or_b32 v13, v17, 12, v15
	v_or_b32_e32 v9, v18, v9
	s_or_b32 s0, s1, s0
	v_mul_f64 v[6:7], v[6:7], s[4:5]
	v_add_co_ci_u32_e64 v12, s0, 0, v12, s0
	v_cmp_gt_i32_e64 s0, 1, v17
	v_cndmask_b32_e64 v13, v13, v9, s0
	v_cmp_ne_u32_e64 s0, 0, v10
	v_and_b32_e32 v18, 7, v13
	v_cndmask_b32_e64 v9, 0, 1, s0
	v_cmp_gt_i32_e64 s0, 31, v16
	v_lshrrev_b32_e32 v16, 16, v2
	v_cmp_eq_u32_e64 s1, 3, v18
	v_lshl_or_b32 v19, v9, 9, 0x7c00
	v_cvt_f64_f32_e32 v[9:10], v1
	v_cndmask_b32_e64 v14, 0x7c00, v12, s0
	v_cmp_lt_i32_e64 s0, 5, v18
	v_lshrrev_b32_e32 v1, 2, v13
	v_and_or_b32 v2, 0x1ff, v7, v6
	v_mad_u64_u32 v[11:12], null, s11, v26, v[4:5]
	s_or_b32 s0, s1, s0
	v_cndmask_b32_e64 v4, v14, v19, s2
	v_add_co_ci_u32_e64 v6, s0, 0, v1, s0
	v_cmp_ne_u32_e64 s0, 0, v15
	v_lshrrev_b32_e32 v18, 8, v7
	v_bfe_u32 v19, v7, 20, 11
	v_add_nc_u32_e32 v1, 0xc00, v49
	v_lshrrev_b32_e32 v5, 16, v5
	v_cndmask_b32_e64 v14, 0, 1, s0
	v_cmp_ne_u32_e64 s0, 0, v2
	v_lshrrev_b32_e32 v7, 16, v7
	ds_read2_b32 v[1:2], v1 offset0:90 offset1:207
	v_cndmask_b32_e64 v15, 0, 1, s0
	v_mul_f64 v[12:13], v[9:10], s[4:5]
	v_cmp_gt_i32_e64 s0, 31, v17
	v_sub_nc_u32_e32 v9, 0x3f1, v19
	v_lshl_or_b32 v10, v14, 9, 0x7c00
	v_and_or_b32 v18, 0xffe, v18, v15
	v_mad_u64_u32 v[14:15], null, s8, v56, 0
	v_cndmask_b32_e64 v6, 0x7c00, v6, s0
	v_med3_i32 v27, v9, 0, 13
	v_or_b32_e32 v26, 0x1000, v18
	v_cmp_eq_u32_e64 s0, 0x40f, v17
	v_mov_b32_e32 v9, v11
	v_and_or_b32 v11, 0x8000, v16, v4
	v_mov_b32_e32 v4, v15
	v_add_nc_u32_e32 v19, 0xfffffc10, v19
	v_cndmask_b32_e64 v6, v6, v10, s0
	v_lshrrev_b32_e32 v10, v27, v26
	s_waitcnt lgkmcnt(0)
	v_lshrrev_b32_e32 v17, 16, v1
	v_and_b32_e32 v11, 0xffff, v11
	v_lshlrev_b64 v[8:9], 2, v[8:9]
	v_and_or_b32 v16, 0x8000, v5, v6
	v_lshlrev_b32_e32 v6, v27, v10
	v_and_or_b32 v12, 0x1ff, v13, v12
	v_mad_u64_u32 v[4:5], null, s9, v56, v[4:5]
	v_mul_f16_sdwa v5, v57, v17 dst_sel:DWORD dst_unused:UNUSED_PAD src0_sel:WORD_1 src1_sel:DWORD
	v_cmp_ne_u32_e64 s0, v6, v26
	v_lshrrev_b32_e32 v15, 8, v13
	v_bfe_u32 v26, v13, 20, 11
	v_lshl_or_b32 v27, v19, 12, v18
	v_fmac_f16_e32 v5, v57, v1
	v_cndmask_b32_e64 v6, 0, 1, s0
	v_cmp_ne_u32_e64 s0, 0, v12
	v_lshl_or_b32 v16, v16, 16, v11
	v_mul_f16_sdwa v1, v57, v1 dst_sel:DWORD dst_unused:UNUSED_PAD src0_sel:WORD_1 src1_sel:DWORD
	v_cvt_f32_f16_e32 v5, v5
	v_or_b32_e32 v10, v10, v6
	v_cndmask_b32_e64 v12, 0, 1, s0
	v_cmp_gt_i32_e64 s0, 1, v19
	v_fma_f16 v1, v57, v17, -v1
	v_cvt_f64_f32_e32 v[5:6], v5
	v_and_or_b32 v12, 0xffe, v15, v12
	v_sub_nc_u32_e32 v15, 0x3f1, v26
	v_cndmask_b32_e64 v10, v27, v10, s0
	v_add_co_u32 v29, s0, s6, v8
	v_or_b32_e32 v27, 0x1000, v12
	v_med3_i32 v28, v15, 0, 13
	v_mov_b32_e32 v15, v4
	v_add_co_ci_u32_e64 v30, s0, s7, v9, s0
	v_and_b32_e32 v4, 7, v10
	v_lshrrev_b32_e32 v11, v28, v27
	v_lshlrev_b64 v[8:9], 2, v[14:15]
	v_lshrrev_b32_e32 v10, 2, v10
	v_cvt_f32_f16_e32 v1, v1
	v_cmp_lt_i32_e64 s0, 5, v4
	v_lshlrev_b32_e32 v14, v28, v11
	v_cmp_eq_u32_e64 s1, 3, v4
	v_mul_f64 v[4:5], v[5:6], s[4:5]
	v_cmp_ne_u32_e64 s2, v14, v27
	s_or_b32 s0, s1, s0
	v_add_nc_u32_e32 v6, 0xfffffc10, v26
	v_add_co_ci_u32_e64 v15, s0, 0, v10, s0
	v_cndmask_b32_e64 v14, 0, 1, s2
	v_cmp_ne_u32_e64 s0, 0, v18
	v_lshl_or_b32 v17, v6, 12, v12
	v_or_b32_e32 v14, v11, v14
	v_cvt_f64_f32_e32 v[10:11], v1
	v_cndmask_b32_e64 v1, 0, 1, s0
	v_cmp_gt_i32_e64 s0, 1, v6
	v_lshl_or_b32 v1, v1, 9, 0x7c00
	v_cndmask_b32_e64 v14, v17, v14, s0
	v_add_co_u32 v8, s0, v29, v8
	v_add_co_ci_u32_e64 v9, s0, v30, v9, s0
	v_cmp_gt_i32_e64 s0, 31, v19
	v_and_b32_e32 v17, 7, v14
	v_and_or_b32 v4, 0x1ff, v5, v4
	v_lshrrev_b32_e32 v14, 2, v14
	global_store_dword v[8:9], v16, off
	v_cndmask_b32_e64 v15, 0x7c00, v15, s0
	v_cmp_eq_u32_e64 s0, 0x40f, v19
	v_cmp_eq_u32_e64 s1, 3, v17
	v_cmp_ne_u32_e64 s2, 0, v4
	v_bfe_u32 v16, v5, 20, 11
	v_mul_f64 v[10:11], v[10:11], s[4:5]
	v_cndmask_b32_e64 v1, v15, v1, s0
	v_cmp_lt_i32_e64 s0, 5, v17
	v_cndmask_b32_e64 v4, 0, 1, s2
	v_lshrrev_b32_e32 v15, 8, v5
	s_mul_hi_u32 s2, s8, 0x1ad
	v_and_or_b32 v1, 0x8000, v7, v1
	s_or_b32 s0, s1, s0
	s_mul_i32 s1, s9, 0x1ad
	v_add_co_ci_u32_e64 v14, s0, 0, v14, s0
	v_cmp_ne_u32_e64 s0, 0, v12
	v_and_or_b32 v15, 0xffe, v15, v4
	v_sub_nc_u32_e32 v4, 0x3f1, v16
	v_add_nc_u32_e32 v16, 0xfffffc10, v16
	s_add_i32 s3, s2, s1
	v_cndmask_b32_e64 v12, 0, 1, s0
	v_cmp_gt_i32_e64 s0, 31, v6
	v_or_b32_e32 v17, 0x1000, v15
	v_med3_i32 v4, v4, 0, 13
	v_and_b32_e32 v1, 0xffff, v1
	v_lshl_or_b32 v12, v12, 9, 0x7c00
	v_cndmask_b32_e64 v14, 0x7c00, v14, s0
	v_cmp_eq_u32_e64 s0, 0x40f, v6
	v_and_or_b32 v10, 0x1ff, v11, v10
	v_lshrrev_b32_e32 v7, v4, v17
	v_bfe_u32 v18, v11, 20, 11
	s_mul_i32 s2, s8, 0x1ad
	v_cndmask_b32_e64 v6, v14, v12, s0
	v_lshrrev_b32_e32 v12, 16, v13
	v_lshrrev_b32_e32 v13, 16, v3
	v_cmp_ne_u32_e64 s0, 0, v10
	v_lshlrev_b32_e32 v4, v4, v7
	v_lshrrev_b32_e32 v14, 8, v11
	v_and_or_b32 v12, 0x8000, v12, v6
	v_mul_f16_sdwa v6, v55, v13 dst_sel:DWORD dst_unused:UNUSED_PAD src0_sel:WORD_1 src1_sel:DWORD
	v_cndmask_b32_e64 v10, 0, 1, s0
	v_cmp_ne_u32_e64 s0, v4, v17
	v_lshl_or_b32 v17, v16, 12, v15
	v_lshl_or_b32 v1, v12, 16, v1
	v_fmac_f16_e32 v6, v55, v3
	v_and_or_b32 v10, 0xffe, v14, v10
	v_sub_nc_u32_e32 v14, 0x3f1, v18
	v_cndmask_b32_e64 v4, 0, 1, s0
	v_cmp_gt_i32_e64 s0, 1, v16
	v_cvt_f32_f16_e32 v6, v6
	v_or_b32_e32 v19, 0x1000, v10
	v_med3_i32 v14, v14, 0, 13
	v_or_b32_e32 v4, v7, v4
	v_mul_f16_sdwa v3, v55, v3 dst_sel:DWORD dst_unused:UNUSED_PAD src0_sel:WORD_1 src1_sel:DWORD
	v_cvt_f64_f32_e32 v[6:7], v6
	s_lshl_b64 s[12:13], s[2:3], 2
	v_lshrrev_b32_e32 v26, v14, v19
	v_cndmask_b32_e64 v17, v17, v4, s0
	v_fma_f16 v3, v55, v13, -v3
	v_lshrrev_b32_e32 v5, 16, v5
	v_lshrrev_b32_e32 v11, 16, v11
	v_lshlrev_b32_e32 v4, v14, v26
	v_and_b32_e32 v13, 7, v17
	v_cvt_f32_f16_e32 v3, v3
	v_add_nc_u32_e32 v14, 0xfffffc10, v18
	v_cmp_ne_u32_e64 s1, v4, v19
	v_cmp_lt_i32_e64 s0, 5, v13
	v_cvt_f64_f32_e32 v[3:4], v3
	v_cndmask_b32_e64 v12, 0, 1, s1
	v_cmp_eq_u32_e64 s1, 3, v13
	v_lshrrev_b32_e32 v13, 2, v17
	v_lshl_or_b32 v17, v14, 12, v10
	v_mul_f64 v[6:7], v[6:7], s[4:5]
	s_or_b32 s0, s1, s0
	v_or_b32_e32 v12, v26, v12
	v_add_co_ci_u32_e64 v13, s0, 0, v13, s0
	v_cmp_ne_u32_e64 s0, 0, v15
	v_cndmask_b32_e64 v15, 0, 1, s0
	v_cmp_gt_i32_e64 s0, 1, v14
	v_lshl_or_b32 v15, v15, 9, 0x7c00
	v_cndmask_b32_e64 v17, v17, v12, s0
	v_add_co_u32 v8, s0, v8, s12
	v_add_co_ci_u32_e64 v9, s0, s13, v9, s0
	v_cmp_gt_i32_e64 s0, 31, v16
	v_and_b32_e32 v19, 7, v17
	global_store_dword v[8:9], v1, off
	v_cndmask_b32_e64 v18, 0x7c00, v13, s0
	v_mul_f64 v[12:13], v[3:4], s[4:5]
	v_and_or_b32 v3, 0x1ff, v7, v6
	v_cmp_eq_u32_e64 s0, 0x40f, v16
	v_add_nc_u32_e32 v4, 0x800, v49
	v_lshrrev_b32_e32 v16, 8, v7
	v_cmp_ne_u32_e64 s1, 0, v3
	v_cndmask_b32_e64 v6, v18, v15, s0
	v_cmp_lt_i32_e64 s0, 5, v19
	ds_read2_b32 v[3:4], v4 offset0:34 offset1:151
	v_bfe_u32 v18, v7, 20, 11
	v_cndmask_b32_e64 v15, 0, 1, s1
	v_cmp_eq_u32_e64 s1, 3, v19
	v_and_or_b32 v19, 0x8000, v5, v6
	v_lshrrev_b32_e32 v5, 2, v17
	v_sub_nc_u32_e32 v6, 0x3f1, v18
	v_and_or_b32 v15, 0xffe, v16, v15
	s_or_b32 s0, s1, s0
	v_add_co_ci_u32_e64 v5, s0, 0, v5, s0
	v_cmp_gt_i32_e64 s0, 31, v14
	v_and_or_b32 v12, 0x1ff, v13, v12
	v_or_b32_e32 v16, 0x1000, v15
	v_med3_i32 v6, v6, 0, 13
	v_lshrrev_b32_e32 v26, 8, v13
	v_cndmask_b32_e64 v5, 0x7c00, v5, s0
	v_cmp_ne_u32_e64 s0, 0, v10
	v_bfe_u32 v28, v13, 20, 11
	v_lshrrev_b32_e32 v17, v6, v16
	s_waitcnt lgkmcnt(0)
	v_lshrrev_b32_e32 v27, 16, v3
	v_cndmask_b32_e64 v10, 0, 1, s0
	v_cmp_ne_u32_e64 s0, 0, v12
	v_lshlrev_b32_e32 v6, v6, v17
	v_sub_nc_u32_e32 v29, 0x3f1, v28
	v_lshl_or_b32 v10, v10, 9, 0x7c00
	v_cndmask_b32_e64 v12, 0, 1, s0
	v_cmp_eq_u32_e64 s0, 0x40f, v14
	v_med3_i32 v29, v29, 0, 13
	v_and_or_b32 v12, 0xffe, v26, v12
	v_mul_f16_sdwa v26, v54, v27 dst_sel:DWORD dst_unused:UNUSED_PAD src0_sel:WORD_1 src1_sel:DWORD
	v_cndmask_b32_e64 v10, v5, v10, s0
	v_cmp_ne_u32_e64 s0, v6, v16
	v_add_nc_u32_e32 v16, 0xfffffc10, v18
	v_or_b32_e32 v14, 0x1000, v12
	v_fmac_f16_e32 v26, v54, v3
	v_and_or_b32 v10, 0x8000, v11, v10
	v_cndmask_b32_e64 v5, 0, 1, s0
	v_cmp_gt_i32_e64 s0, 1, v16
	v_lshrrev_b32_e32 v18, v29, v14
	v_cvt_f32_f16_e32 v6, v26
	v_lshl_or_b32 v26, v16, 12, v15
	v_or_b32_e32 v17, v17, v5
	v_and_b32_e32 v11, 0xffff, v19
	v_lshlrev_b32_e32 v29, v29, v18
	v_cvt_f64_f32_e32 v[5:6], v6
	v_add_nc_u32_e32 v19, 0xfffffc10, v28
	v_cndmask_b32_e64 v17, v26, v17, s0
	v_lshl_or_b32 v1, v10, 16, v11
	v_cmp_ne_u32_e64 s0, v29, v14
	v_mul_f16_sdwa v3, v54, v3 dst_sel:DWORD dst_unused:UNUSED_PAD src0_sel:WORD_1 src1_sel:DWORD
	v_cmp_gt_i32_e64 s1, 1, v19
	v_and_b32_e32 v10, 7, v17
	v_cmp_gt_i32_e64 s2, 31, v16
	v_cndmask_b32_e64 v14, 0, 1, s0
	v_add_co_u32 v8, s0, v8, s12
	v_add_co_ci_u32_e64 v9, s0, s13, v9, s0
	v_or_b32_e32 v11, v18, v14
	v_lshl_or_b32 v14, v19, 12, v12
	v_cmp_lt_i32_e64 s0, 5, v10
	global_store_dword v[8:9], v1, off
	v_lshrrev_b32_e32 v1, 2, v17
	v_fma_f16 v3, v54, v27, -v3
	v_cndmask_b32_e64 v11, v14, v11, s1
	v_cmp_eq_u32_e64 s1, 3, v10
	v_mul_f64 v[5:6], v[5:6], s[4:5]
	v_cvt_f32_f16_e32 v3, v3
	v_and_b32_e32 v10, 7, v11
	s_or_b32 s0, s1, s0
	v_add_co_ci_u32_e64 v1, s0, 0, v1, s0
	v_cmp_ne_u32_e64 s0, 0, v15
	v_cmp_eq_u32_e64 s1, 3, v10
	v_lshrrev_b32_e32 v15, 2, v11
	v_cndmask_b32_e64 v1, 0x7c00, v1, s2
	s_mul_i32 s2, s8, 0xfffffd1b
	v_cndmask_b32_e64 v14, 0, 1, s0
	v_cmp_lt_i32_e64 s0, 5, v10
	v_cvt_f64_f32_e32 v[10:11], v3
	v_lshl_or_b32 v3, v14, 9, 0x7c00
	s_or_b32 s0, s1, s0
	s_mul_hi_u32 s1, s8, 0xfffffd1b
	v_add_co_ci_u32_e64 v14, s0, 0, v15, s0
	v_cmp_eq_u32_e64 s0, 0x40f, v16
	v_and_or_b32 v5, 0x1ff, v6, v5
	v_bfe_u32 v15, v6, 20, 11
	v_lshrrev_b32_e32 v16, 16, v2
	s_sub_i32 s1, s1, s8
	v_cndmask_b32_e64 v1, v1, v3, s0
	v_cmp_gt_i32_e64 s0, 31, v19
	v_lshrrev_b32_e32 v3, 16, v7
	v_mul_f16_sdwa v17, v53, v16 dst_sel:DWORD dst_unused:UNUSED_PAD src0_sel:WORD_1 src1_sel:DWORD
	v_cndmask_b32_e64 v7, 0x7c00, v14, s0
	v_cmp_ne_u32_e64 s0, 0, v5
	v_lshrrev_b32_e32 v14, 8, v6
	v_mul_f64 v[10:11], v[10:11], s[4:5]
	v_fmac_f16_e32 v17, v53, v2
	v_and_or_b32 v1, 0x8000, v3, v1
	v_cndmask_b32_e64 v5, 0, 1, s0
	v_cmp_ne_u32_e64 s0, 0, v12
	v_mul_f16_sdwa v2, v53, v2 dst_sel:DWORD dst_unused:UNUSED_PAD src0_sel:WORD_1 src1_sel:DWORD
	v_and_b32_e32 v1, 0xffff, v1
	v_and_or_b32 v5, 0xffe, v14, v5
	v_cndmask_b32_e64 v12, 0, 1, s0
	v_sub_nc_u32_e32 v14, 0x3f1, v15
	v_cmp_eq_u32_e64 s0, 0x40f, v19
	v_lshrrev_b32_e32 v19, 16, v13
	v_or_b32_e32 v18, 0x1000, v5
	v_lshl_or_b32 v12, v12, 9, 0x7c00
	v_med3_i32 v14, v14, 0, 13
	v_add_nc_u32_e32 v15, 0xfffffc10, v15
	v_fma_f16 v2, v53, v16, -v2
	v_cndmask_b32_e64 v3, v7, v12, s0
	v_lshrrev_b32_e32 v7, v14, v18
	v_cvt_f32_f16_e32 v12, v17
	s_mul_i32 s0, s9, 0xfffffd1b
	v_and_or_b32 v10, 0x1ff, v11, v10
	s_add_i32 s3, s1, s0
	v_lshlrev_b32_e32 v14, v14, v7
	v_cvt_f64_f32_e32 v[12:13], v12
	v_and_or_b32 v3, 0x8000, v19, v3
	v_lshrrev_b32_e32 v17, 8, v11
	s_lshl_b64 s[6:7], s[2:3], 2
	v_cmp_ne_u32_e64 s0, v14, v18
	v_bfe_u32 v18, v11, 20, 11
	v_lshl_or_b32 v1, v3, 16, v1
	v_cvt_f32_f16_e32 v2, v2
	v_lshrrev_b32_e32 v11, 16, v11
	v_cndmask_b32_e64 v14, 0, 1, s0
	v_cmp_ne_u32_e64 s0, 0, v10
	v_or_b32_e32 v7, v7, v14
	v_lshl_or_b32 v14, v15, 12, v5
	v_cndmask_b32_e64 v10, 0, 1, s0
	v_cmp_gt_i32_e64 s0, 1, v15
	v_and_or_b32 v3, 0xffe, v17, v10
	v_cndmask_b32_e64 v14, v14, v7, s0
	v_sub_nc_u32_e32 v7, 0x3f1, v18
	v_mul_f64 v[12:13], v[12:13], s[4:5]
	v_or_b32_e32 v17, 0x1000, v3
	v_and_b32_e32 v10, 7, v14
	v_med3_i32 v19, v7, 0, 13
	v_add_co_u32 v7, s0, v8, s6
	v_add_co_ci_u32_e64 v8, s0, s7, v9, s0
	v_lshrrev_b32_e32 v9, v19, v17
	v_cmp_lt_i32_e64 s0, 5, v10
	v_cmp_eq_u32_e64 s1, 3, v10
	global_store_dword v[7:8], v1, off
	v_lshrrev_b32_e32 v1, 2, v14
	v_lshlrev_b32_e32 v10, v19, v9
	v_add_nc_u32_e32 v14, 0xfffffc10, v18
	s_or_b32 s0, s1, s0
	v_add_co_ci_u32_e64 v1, s0, 0, v1, s0
	v_cmp_ne_u32_e64 s0, v10, v17
	v_and_or_b32 v12, 0x1ff, v13, v12
	v_lshrrev_b32_e32 v17, 8, v13
	v_bfe_u32 v18, v13, 20, 11
	v_cndmask_b32_e64 v10, 0, 1, s0
	v_cmp_gt_i32_e64 s0, 31, v15
	v_or_b32_e32 v9, v9, v10
	v_cndmask_b32_e64 v16, 0x7c00, v1, s0
	v_cmp_ne_u32_e64 s0, 0, v12
	v_cvt_f64_f32_e32 v[1:2], v2
	v_lshl_or_b32 v10, v14, 12, v3
	v_cndmask_b32_e64 v12, 0, 1, s0
	v_cmp_ne_u32_e64 s0, 0, v5
	v_cndmask_b32_e64 v5, 0, 1, s0
	v_cmp_gt_i32_e64 s0, 1, v14
	v_lshl_or_b32 v5, v5, 9, 0x7c00
	v_cndmask_b32_e64 v9, v10, v9, s0
	v_and_or_b32 v10, 0xffe, v17, v12
	v_sub_nc_u32_e32 v12, 0x3f1, v18
	v_cmp_eq_u32_e64 s0, 0x40f, v15
	v_lshrrev_b32_e32 v17, 16, v0
	v_and_b32_e32 v19, 7, v9
	v_or_b32_e32 v26, 0x1000, v10
	v_med3_i32 v12, v12, 0, 13
	v_cndmask_b32_e64 v15, v16, v5, s0
	v_lshrrev_b32_e32 v5, 2, v9
	v_cmp_lt_i32_e64 s0, 5, v19
	v_cmp_eq_u32_e64 s1, 3, v19
	v_lshrrev_b32_e32 v16, v12, v26
	v_mul_f16_sdwa v27, v52, v17 dst_sel:DWORD dst_unused:UNUSED_PAD src0_sel:WORD_1 src1_sel:DWORD
	v_mul_f64 v[1:2], v[1:2], s[4:5]
	v_lshrrev_b32_e32 v19, 16, v6
	s_or_b32 s0, s1, s0
	v_lshlrev_b32_e32 v9, v12, v16
	v_add_co_ci_u32_e64 v12, s0, 0, v5, s0
	v_cmp_ne_u32_e64 s0, 0, v3
	v_fmac_f16_e32 v27, v52, v0
	v_add_nc_u32_e32 v18, 0xfffffc10, v18
	v_mul_f16_sdwa v0, v52, v0 dst_sel:DWORD dst_unused:UNUSED_PAD src0_sel:WORD_1 src1_sel:DWORD
	v_and_or_b32 v15, 0x8000, v19, v15
	v_cndmask_b32_e64 v3, 0, 1, s0
	v_cmp_ne_u32_e64 s0, v9, v26
	v_cvt_f32_f16_e32 v6, v27
	v_fma_f16 v0, v52, v17, -v0
	v_and_b32_e32 v15, 0xffff, v15
	v_lshl_or_b32 v3, v3, 9, 0x7c00
	v_cndmask_b32_e64 v9, 0, 1, s0
	v_cmp_gt_i32_e64 s0, 31, v14
	v_cvt_f64_f32_e32 v[5:6], v6
	v_cvt_f32_f16_e32 v0, v0
	v_lshrrev_b32_e32 v19, 16, v4
	v_or_b32_e32 v9, v16, v9
	v_cndmask_b32_e64 v12, 0x7c00, v12, s0
	v_cmp_eq_u32_e64 s0, 0x40f, v14
	v_lshl_or_b32 v16, v18, 12, v10
	v_and_or_b32 v1, 0x1ff, v2, v1
	v_bfe_u32 v14, v2, 20, 11
	v_mul_f16_sdwa v26, v51, v19 dst_sel:DWORD dst_unused:UNUSED_PAD src0_sel:WORD_1 src1_sel:DWORD
	v_cndmask_b32_e64 v3, v12, v3, s0
	v_cmp_gt_i32_e64 s0, 1, v18
	v_lshrrev_b32_e32 v12, 8, v2
	v_fmac_f16_e32 v26, v51, v4
	v_and_or_b32 v3, 0x8000, v11, v3
	v_cndmask_b32_e64 v9, v16, v9, s0
	v_cmp_ne_u32_e64 s0, 0, v1
	v_mul_f16_sdwa v4, v51, v4 dst_sel:DWORD dst_unused:UNUSED_PAD src0_sel:WORD_1 src1_sel:DWORD
	v_lshl_or_b32 v15, v3, 16, v15
	v_and_b32_e32 v16, 7, v9
	v_cndmask_b32_e64 v1, 0, 1, s0
	v_mul_f64 v[5:6], v[5:6], s[4:5]
	v_lshrrev_b32_e32 v9, 2, v9
	v_fma_f16 v4, v51, v19, -v4
	v_cmp_lt_i32_e64 s0, 5, v16
	v_and_or_b32 v12, 0xffe, v12, v1
	v_sub_nc_u32_e32 v1, 0x3f1, v14
	v_cmp_eq_u32_e64 s1, 3, v16
	v_cvt_f32_f16_e32 v4, v4
	v_or_b32_e32 v11, 0x1000, v12
	v_med3_i32 v1, v1, 0, 13
	s_or_b32 s0, s1, s0
	v_add_co_ci_u32_e64 v9, s0, 0, v9, s0
	v_lshrrev_b32_e32 v16, v1, v11
	v_cmp_gt_i32_e64 s0, 31, v18
	v_lshlrev_b32_e32 v1, v1, v16
	v_cndmask_b32_e64 v3, 0x7c00, v9, s0
	v_and_or_b32 v5, 0x1ff, v6, v5
	v_bfe_u32 v17, v6, 20, 11
	v_cmp_ne_u32_e64 s0, v1, v11
	v_cvt_f64_f32_e32 v[0:1], v0
	v_add_nc_u32_e32 v11, 0xfffffc10, v14
	v_lshrrev_b32_e32 v14, 8, v6
	v_lshrrev_b32_e32 v6, 16, v6
	v_cndmask_b32_e64 v9, 0, 1, s0
	v_cmp_ne_u32_e64 s0, 0, v5
	v_or_b32_e32 v9, v16, v9
	v_cndmask_b32_e64 v5, 0, 1, s0
	v_cmp_ne_u32_e64 s0, 0, v10
	v_lshl_or_b32 v16, v11, 12, v12
	v_and_or_b32 v5, 0xffe, v14, v5
	v_cndmask_b32_e64 v10, 0, 1, s0
	v_sub_nc_u32_e32 v14, 0x3f1, v17
	v_cmp_gt_i32_e64 s0, 1, v11
	v_lshl_or_b32 v10, v10, 9, 0x7c00
	v_med3_i32 v14, v14, 0, 13
	v_cndmask_b32_e64 v9, v16, v9, s0
	v_or_b32_e32 v16, 0x1000, v5
	v_cmp_eq_u32_e64 s0, 0x40f, v18
	v_mul_f64 v[0:1], v[0:1], s[4:5]
	v_lshrrev_b32_e32 v18, v14, v16
	v_cndmask_b32_e64 v3, v3, v10, s0
	v_lshrrev_b32_e32 v10, 16, v13
	v_and_b32_e32 v13, 7, v9
	v_add_co_u32 v7, s0, v7, s12
	v_add_co_ci_u32_e64 v8, s0, s13, v8, s0
	v_and_or_b32 v27, 0x8000, v10, v3
	v_lshlrev_b32_e32 v3, v14, v18
	v_cmp_lt_i32_e64 s0, 5, v13
	v_cmp_eq_u32_e64 s1, 3, v13
	v_lshrrev_b32_e32 v9, 2, v9
	v_add_nc_u32_e32 v13, 0xfffffc10, v17
	v_cmp_ne_u32_e64 s2, v3, v16
	v_cvt_f32_f16_e32 v10, v26
	s_or_b32 s0, s1, s0
	v_add_co_ci_u32_e64 v14, s0, 0, v9, s0
	v_cndmask_b32_e64 v3, 0, 1, s2
	v_cmp_ne_u32_e64 s0, 0, v12
	v_lshl_or_b32 v16, v13, 12, v5
	v_and_or_b32 v0, 0x1ff, v1, v0
	v_cvt_f64_f32_e32 v[9:10], v10
	v_or_b32_e32 v3, v18, v3
	v_cndmask_b32_e64 v12, 0, 1, s0
	v_cmp_gt_i32_e64 s0, 1, v13
	v_bfe_u32 v17, v1, 20, 11
	v_lshl_or_b32 v12, v12, 9, 0x7c00
	v_cndmask_b32_e64 v16, v16, v3, s0
	v_cmp_ne_u32_e64 s0, 0, v0
	v_lshrrev_b32_e32 v3, 8, v1
	v_and_b32_e32 v18, 7, v16
	v_cndmask_b32_e64 v0, 0, 1, s0
	v_cmp_gt_i32_e64 s0, 31, v11
	v_cmp_eq_u32_e64 s1, 3, v18
	v_and_or_b32 v0, 0xffe, v3, v0
	v_cndmask_b32_e64 v14, 0x7c00, v14, s0
	v_cmp_eq_u32_e64 s0, 0x40f, v11
	v_or_b32_e32 v26, 0x1000, v0
	v_cndmask_b32_e64 v11, v14, v12, s0
	v_lshrrev_b32_e32 v14, 16, v2
	v_sub_nc_u32_e32 v12, 0x3f1, v17
	v_cmp_lt_i32_e64 s0, 5, v18
	v_mul_f64 v[2:3], v[9:10], s[4:5]
	ds_read_b32 v18, v49 offset:4368
	v_and_or_b32 v10, 0x8000, v14, v11
	v_lshrrev_b32_e32 v11, 2, v16
	v_med3_i32 v9, v12, 0, 13
	s_or_b32 s0, s1, s0
	v_and_b32_e32 v12, 0xffff, v27
	v_add_nc_u32_e32 v17, 0xfffffc10, v17
	v_add_co_ci_u32_e64 v11, s0, 0, v11, s0
	v_lshrrev_b32_e32 v14, v9, v26
	v_cmp_ne_u32_e64 s0, 0, v5
	v_lshl_or_b32 v16, v10, 16, v12
	v_lshlrev_b32_e32 v9, v9, v14
	v_cndmask_b32_e64 v5, 0, 1, s0
	v_cmp_gt_i32_e64 s0, 31, v13
	v_lshl_or_b32 v5, v5, 9, 0x7c00
	v_cndmask_b32_e64 v10, 0x7c00, v11, s0
	v_cmp_ne_u32_e64 s0, v9, v26
	v_and_or_b32 v2, 0x1ff, v3, v2
	v_lshrrev_b32_e32 v12, 8, v3
	s_waitcnt lgkmcnt(0)
	v_lshrrev_b32_e32 v19, 16, v18
	v_cndmask_b32_e64 v9, 0, 1, s0
	v_cmp_eq_u32_e64 s0, 0x40f, v13
	v_bfe_u32 v13, v3, 20, 11
	v_mul_f16_sdwa v28, v50, v19 dst_sel:DWORD dst_unused:UNUSED_PAD src0_sel:WORD_1 src1_sel:DWORD
	v_lshrrev_b32_e32 v3, 16, v3
	v_or_b32_e32 v9, v14, v9
	v_cndmask_b32_e64 v11, v10, v5, s0
	v_cmp_ne_u32_e64 s0, 0, v2
	v_lshl_or_b32 v10, v17, 12, v0
	v_cvt_f64_f32_e32 v[4:5], v4
	v_fmac_f16_e32 v28, v50, v18
	v_and_or_b32 v6, 0x8000, v6, v11
	v_cndmask_b32_e64 v2, 0, 1, s0
	v_cmp_gt_i32_e64 s0, 1, v17
	v_mul_f16_sdwa v18, v50, v18 dst_sel:DWORD dst_unused:UNUSED_PAD src0_sel:WORD_1 src1_sel:DWORD
	v_and_b32_e32 v6, 0xffff, v6
	v_and_or_b32 v2, 0xffe, v12, v2
	v_cndmask_b32_e64 v14, v10, v9, s0
	v_sub_nc_u32_e32 v9, 0x3f1, v13
	v_add_nc_u32_e32 v13, 0xfffffc10, v13
	v_fma_f16 v18, v50, v19, -v18
	v_or_b32_e32 v26, 0x1000, v2
	v_and_b32_e32 v12, 7, v14
	v_med3_i32 v27, v9, 0, 13
	v_add_co_u32 v9, s0, v7, s12
	v_add_co_ci_u32_e64 v10, s0, s13, v8, s0
	v_lshrrev_b32_e32 v29, v27, v26
	v_cmp_lt_i32_e64 s0, 5, v12
	v_cmp_eq_u32_e64 s1, 3, v12
	v_lshrrev_b32_e32 v11, 2, v14
	v_cvt_f32_f16_e32 v12, v28
	v_lshlrev_b32_e32 v14, v27, v29
	v_mul_f64 v[4:5], v[4:5], s[4:5]
	s_or_b32 s0, s1, s0
	v_cvt_f32_f16_e32 v18, v18
	v_add_co_ci_u32_e64 v27, s0, 0, v11, s0
	v_cmp_ne_u32_e64 s0, v14, v26
	v_cvt_f64_f32_e32 v[11:12], v12
	v_lshl_or_b32 v26, v13, 12, v2
	v_cndmask_b32_e64 v14, 0, 1, s0
	v_cmp_ne_u32_e64 s0, 0, v0
	v_or_b32_e32 v14, v29, v14
	v_cndmask_b32_e64 v0, 0, 1, s0
	v_cmp_gt_i32_e64 s0, 31, v17
	v_lshl_or_b32 v0, v0, 9, 0x7c00
	v_cndmask_b32_e64 v19, 0x7c00, v27, s0
	v_cmp_gt_i32_e64 s0, 1, v13
	v_and_or_b32 v4, 0x1ff, v5, v4
	v_bfe_u32 v27, v5, 20, 11
	v_cndmask_b32_e64 v14, v26, v14, s0
	v_cmp_eq_u32_e64 s0, 0x40f, v17
	v_mul_f64 v[11:12], v[11:12], s[4:5]
	v_lshrrev_b32_e32 v26, 8, v5
	v_lshrrev_b32_e32 v5, 16, v5
	v_cndmask_b32_e64 v17, v19, v0, s0
	v_lshrrev_b32_e32 v19, 16, v1
	v_cvt_f64_f32_e32 v[0:1], v18
	v_cmp_ne_u32_e64 s0, 0, v4
	v_and_b32_e32 v18, 7, v14
	v_lshrrev_b32_e32 v14, 2, v14
	v_and_or_b32 v17, 0x8000, v19, v17
	v_sub_nc_u32_e32 v19, 0x3f1, v27
	v_cndmask_b32_e64 v4, 0, 1, s0
	v_cmp_lt_i32_e64 s0, 5, v18
	v_cmp_eq_u32_e64 s1, 3, v18
	v_lshl_or_b32 v6, v17, 16, v6
	v_med3_i32 v18, v19, 0, 13
	v_and_or_b32 v4, 0xffe, v26, v4
	s_or_b32 s0, s1, s0
	v_add_co_ci_u32_e64 v14, s0, 0, v14, s0
	v_or_b32_e32 v17, 0x1000, v4
	v_cmp_ne_u32_e64 s0, 0, v2
	v_and_or_b32 v11, 0x1ff, v12, v11
	v_lshrrev_b32_e32 v26, 8, v12
	v_bfe_u32 v28, v12, 20, 11
	v_lshrrev_b32_e32 v19, v18, v17
	v_cndmask_b32_e64 v2, 0, 1, s0
	v_cmp_gt_i32_e64 s0, 31, v13
	v_mul_f64 v[0:1], v[0:1], s[4:5]
	v_lshrrev_b32_e32 v12, 16, v12
	v_lshlrev_b32_e32 v18, v18, v19
	v_lshl_or_b32 v2, v2, 9, 0x7c00
	v_cndmask_b32_e64 v14, 0x7c00, v14, s0
	v_cmp_ne_u32_e64 s0, 0, v11
	v_cndmask_b32_e64 v11, 0, 1, s0
	v_cmp_ne_u32_e64 s0, v18, v17
	v_add_nc_u32_e32 v18, 0xfffffc10, v27
	v_and_or_b32 v11, 0xffe, v26, v11
	v_cndmask_b32_e64 v17, 0, 1, s0
	v_sub_nc_u32_e32 v26, 0x3f1, v28
	v_cmp_eq_u32_e64 s0, 0x40f, v13
	v_or_b32_e32 v13, v19, v17
	v_or_b32_e32 v17, 0x1000, v11
	v_cndmask_b32_e64 v2, v14, v2, s0
	v_lshl_or_b32 v14, v18, 12, v4
	v_med3_i32 v19, v26, 0, 13
	v_cmp_gt_i32_e64 s0, 1, v18
	v_and_or_b32 v0, 0x1ff, v1, v0
	v_lshrrev_b32_e32 v26, 8, v1
	v_bfe_u32 v27, v1, 20, 11
	v_and_or_b32 v2, 0x8000, v3, v2
	v_cndmask_b32_e64 v13, v14, v13, s0
	v_lshrrev_b32_e32 v14, v19, v17
	v_cmp_ne_u32_e64 s0, 0, v0
	v_sub_nc_u32_e32 v3, 0x3f1, v27
	v_lshrrev_b32_e32 v1, 16, v1
	v_and_b32_e32 v29, 7, v13
	v_lshlrev_b32_e32 v19, v19, v14
	v_cndmask_b32_e64 v0, 0, 1, s0
	v_lshrrev_b32_e32 v13, 2, v13
	v_med3_i32 v3, v3, 0, 13
	v_cmp_lt_i32_e64 s0, 5, v29
	v_cmp_ne_u32_e64 s1, v19, v17
	v_and_or_b32 v0, 0xffe, v26, v0
	v_add_nc_u32_e32 v26, 0xfffffc10, v28
	v_cndmask_b32_e64 v17, 0, 1, s1
	v_cmp_eq_u32_e64 s1, 3, v29
	v_or_b32_e32 v19, 0x1000, v0
	v_lshl_or_b32 v28, v26, 12, v11
	v_or_b32_e32 v14, v14, v17
	s_or_b32 s0, s1, s0
	v_lshrrev_b32_e32 v17, v3, v19
	v_add_co_ci_u32_e64 v13, s0, 0, v13, s0
	v_cmp_gt_i32_e64 s0, 1, v26
	v_lshlrev_b32_e32 v3, v3, v17
	v_cndmask_b32_e64 v14, v28, v14, s0
	v_cmp_ne_u32_e64 s0, 0, v4
	v_cndmask_b32_e64 v4, 0, 1, s0
	v_cmp_ne_u32_e64 s0, v3, v19
	v_add_nc_u32_e32 v19, 0xfffffc10, v27
	v_and_b32_e32 v27, 7, v14
	v_lshl_or_b32 v4, v4, 9, 0x7c00
	v_cndmask_b32_e64 v3, 0, 1, s0
	v_cmp_gt_i32_e64 s0, 31, v18
	v_cmp_gt_i32_e64 s2, 1, v19
	v_cmp_eq_u32_e64 s1, 3, v27
	v_or_b32_e32 v3, v17, v3
	v_lshl_or_b32 v17, v19, 12, v0
	v_cndmask_b32_e64 v13, 0x7c00, v13, s0
	v_cmp_lt_i32_e64 s0, 5, v27
	v_cndmask_b32_e64 v3, v17, v3, s2
	v_cmp_eq_u32_e64 s2, 0x40f, v18
	s_or_b32 s0, s1, s0
	v_cndmask_b32_e64 v4, v13, v4, s2
	v_lshrrev_b32_e32 v13, 2, v14
	v_and_b32_e32 v14, 7, v3
	v_lshrrev_b32_e32 v3, 2, v3
	v_cmp_gt_i32_e64 s2, 31, v26
	v_and_or_b32 v4, 0x8000, v5, v4
	v_add_co_ci_u32_e64 v13, s0, 0, v13, s0
	v_cmp_ne_u32_e64 s0, 0, v11
	v_cmp_eq_u32_e64 s1, 3, v14
	v_and_b32_e32 v5, 0xffff, v2
	v_cndmask_b32_e64 v13, 0x7c00, v13, s2
	v_cndmask_b32_e64 v11, 0, 1, s0
	v_cmp_lt_i32_e64 s0, 5, v14
	v_lshl_or_b32 v11, v11, 9, 0x7c00
	s_or_b32 s0, s1, s0
	v_add_co_ci_u32_e64 v3, s0, 0, v3, s0
	v_cmp_ne_u32_e64 s0, 0, v0
	v_cndmask_b32_e64 v0, 0, 1, s0
	v_cmp_eq_u32_e64 s0, 0x40f, v26
	v_lshl_or_b32 v0, v0, 9, 0x7c00
	v_cndmask_b32_e64 v11, v13, v11, s0
	v_cmp_gt_i32_e64 s0, 31, v19
	v_and_or_b32 v11, 0x8000, v12, v11
	v_cndmask_b32_e64 v3, 0x7c00, v3, s0
	v_cmp_eq_u32_e64 s0, 0x40f, v19
	v_lshl_or_b32 v12, v4, 16, v5
	v_cndmask_b32_e64 v0, v3, v0, s0
	v_add_co_u32 v2, s0, v9, s6
	v_add_co_ci_u32_e64 v3, s0, s7, v10, s0
	v_and_or_b32 v0, 0x8000, v1, v0
	v_and_b32_e32 v1, 0xffff, v11
	v_add_co_u32 v4, s0, v2, s12
	v_add_co_ci_u32_e64 v5, s0, s13, v3, s0
	v_lshl_or_b32 v11, v0, 16, v1
	v_add_co_u32 v0, s0, v4, s12
	v_add_co_ci_u32_e64 v1, s0, s13, v5, s0
	global_store_dword v[7:8], v15, off
	global_store_dword v[9:10], v16, off
	;; [unrolled: 1-line block ×5, first 2 shown]
	s_and_b32 exec_lo, exec_lo, vcc_lo
	s_cbranch_execz .LBB0_31
; %bb.30:
	s_clause 0x2
	global_load_dword v2, v[22:23], off offset:1404
	global_load_dword v4, v[20:21], off offset:1072
	;; [unrolled: 1-line block ×3, first 2 shown]
	ds_read_b32 v3, v49 offset:1404
	ds_read_b32 v5, v49 offset:3120
	;; [unrolled: 1-line block ×3, first 2 shown]
	v_add_co_u32 v0, vcc_lo, v0, s6
	v_add_co_ci_u32_e32 v1, vcc_lo, s7, v1, vcc_lo
	v_add_co_u32 v14, vcc_lo, v0, s12
	v_add_co_ci_u32_e32 v15, vcc_lo, s13, v1, vcc_lo
	s_waitcnt lgkmcnt(2)
	v_lshrrev_b32_e32 v8, 16, v3
	s_waitcnt lgkmcnt(1)
	v_lshrrev_b32_e32 v10, 16, v5
	;; [unrolled: 2-line block ×3, first 2 shown]
	s_waitcnt vmcnt(2)
	v_mul_f16_sdwa v9, v8, v2 dst_sel:DWORD dst_unused:UNUSED_PAD src0_sel:DWORD src1_sel:WORD_1
	v_mul_f16_sdwa v11, v3, v2 dst_sel:DWORD dst_unused:UNUSED_PAD src0_sel:DWORD src1_sel:WORD_1
	s_waitcnt vmcnt(1)
	v_mul_f16_sdwa v13, v10, v4 dst_sel:DWORD dst_unused:UNUSED_PAD src0_sel:DWORD src1_sel:WORD_1
	v_fmac_f16_e32 v9, v3, v2
	v_fma_f16 v2, v2, v8, -v11
	v_mul_f16_sdwa v8, v5, v4 dst_sel:DWORD dst_unused:UNUSED_PAD src0_sel:DWORD src1_sel:WORD_1
	v_fmac_f16_e32 v13, v5, v4
	v_cvt_f32_f16_e32 v3, v9
	v_cvt_f32_f16_e32 v5, v2
	s_waitcnt vmcnt(0)
	v_mul_f16_sdwa v9, v12, v6 dst_sel:DWORD dst_unused:UNUSED_PAD src0_sel:DWORD src1_sel:WORD_1
	v_fma_f16 v8, v4, v10, -v8
	v_mul_f16_sdwa v10, v7, v6 dst_sel:DWORD dst_unused:UNUSED_PAD src0_sel:DWORD src1_sel:WORD_1
	v_cvt_f64_f32_e32 v[2:3], v3
	v_cvt_f32_f16_e32 v11, v13
	v_cvt_f64_f32_e32 v[4:5], v5
	v_fmac_f16_e32 v9, v7, v6
	v_cvt_f32_f16_e32 v8, v8
	v_fma_f16 v10, v6, v12, -v10
	v_cvt_f64_f32_e32 v[6:7], v11
	v_cvt_f32_f16_e32 v11, v9
	v_cvt_f64_f32_e32 v[8:9], v8
	v_cvt_f32_f16_e32 v12, v10
	v_cvt_f64_f32_e32 v[10:11], v11
	v_cvt_f64_f32_e32 v[12:13], v12
	v_mul_f64 v[2:3], v[2:3], s[4:5]
	v_mul_f64 v[4:5], v[4:5], s[4:5]
	;; [unrolled: 1-line block ×6, first 2 shown]
	v_and_or_b32 v2, 0x1ff, v3, v2
	v_lshrrev_b32_e32 v16, 8, v3
	v_and_or_b32 v4, 0x1ff, v5, v4
	v_bfe_u32 v17, v3, 20, 11
	v_lshrrev_b32_e32 v18, 8, v5
	v_cmp_ne_u32_e32 vcc_lo, 0, v2
	v_and_or_b32 v6, 0x1ff, v7, v6
	v_bfe_u32 v19, v5, 20, 11
	v_lshrrev_b32_e32 v20, 8, v7
	v_and_or_b32 v8, 0x1ff, v9, v8
	v_cndmask_b32_e64 v2, 0, 1, vcc_lo
	v_cmp_ne_u32_e32 vcc_lo, 0, v4
	v_bfe_u32 v21, v7, 20, 11
	v_and_or_b32 v10, 0x1ff, v11, v10
	v_bfe_u32 v23, v9, 20, 11
	v_and_or_b32 v12, 0x1ff, v13, v12
	v_cndmask_b32_e64 v4, 0, 1, vcc_lo
	v_cmp_ne_u32_e32 vcc_lo, 0, v6
	v_and_or_b32 v2, 0xffe, v16, v2
	v_sub_nc_u32_e32 v28, 0x3f1, v17
	v_add_nc_u32_e32 v17, 0xfffffc10, v17
	v_sub_nc_u32_e32 v29, 0x3f1, v19
	v_cndmask_b32_e64 v6, 0, 1, vcc_lo
	v_cmp_ne_u32_e32 vcc_lo, 0, v8
	v_and_or_b32 v4, 0xffe, v18, v4
	v_lshrrev_b32_e32 v22, 8, v9
	v_bfe_u32 v25, v11, 20, 11
	v_bfe_u32 v27, v13, 20, 11
	v_cndmask_b32_e64 v8, 0, 1, vcc_lo
	v_cmp_ne_u32_e32 vcc_lo, 0, v10
	v_add_nc_u32_e32 v19, 0xfffffc10, v19
	v_sub_nc_u32_e32 v30, 0x3f1, v21
	v_sub_nc_u32_e32 v31, 0x3f1, v23
	v_med3_i32 v16, v28, 0, 13
	v_cndmask_b32_e64 v10, 0, 1, vcc_lo
	v_cmp_ne_u32_e32 vcc_lo, 0, v12
	v_med3_i32 v18, v29, 0, 13
	v_and_or_b32 v6, 0xffe, v20, v6
	v_or_b32_e32 v28, 0x1000, v2
	v_lshl_or_b32 v29, v17, 12, v2
	v_cndmask_b32_e64 v12, 0, 1, vcc_lo
	v_cmp_ne_u32_e32 vcc_lo, 0, v2
	v_lshrrev_b32_e32 v24, 8, v11
	v_lshrrev_b32_e32 v26, 8, v13
	v_add_nc_u32_e32 v21, 0xfffffc10, v21
	v_sub_nc_u32_e32 v32, 0x3f1, v25
	v_cndmask_b32_e64 v2, 0, 1, vcc_lo
	v_cmp_ne_u32_e32 vcc_lo, 0, v4
	v_sub_nc_u32_e32 v33, 0x3f1, v27
	v_med3_i32 v20, v30, 0, 13
	v_and_or_b32 v8, 0xffe, v22, v8
	v_med3_i32 v22, v31, 0, 13
	v_or_b32_e32 v30, 0x1000, v4
	v_lshl_or_b32 v31, v19, 12, v4
	v_cndmask_b32_e64 v4, 0, 1, vcc_lo
	v_cmp_ne_u32_e32 vcc_lo, 0, v6
	v_add_nc_u32_e32 v23, 0xfffffc10, v23
	v_and_or_b32 v10, 0xffe, v24, v10
	v_med3_i32 v24, v32, 0, 13
	v_and_or_b32 v12, 0xffe, v26, v12
	v_med3_i32 v26, v33, 0, 13
	v_or_b32_e32 v32, 0x1000, v6
	v_lshl_or_b32 v33, v21, 12, v6
	v_cndmask_b32_e64 v6, 0, 1, vcc_lo
	v_cmp_ne_u32_e32 vcc_lo, 0, v8
	v_add_nc_u32_e32 v25, 0xfffffc10, v25
	v_or_b32_e32 v34, 0x1000, v8
	v_lshl_or_b32 v35, v23, 12, v8
	v_lshrrev_b32_e32 v40, v16, v28
	v_cndmask_b32_e64 v8, 0, 1, vcc_lo
	v_cmp_ne_u32_e32 vcc_lo, 0, v10
	v_add_nc_u32_e32 v27, 0xfffffc10, v27
	v_or_b32_e32 v36, 0x1000, v10
	v_lshl_or_b32 v37, v25, 12, v10
	v_lshrrev_b32_e32 v41, v18, v30
	v_cndmask_b32_e64 v10, 0, 1, vcc_lo
	v_cmp_ne_u32_e32 vcc_lo, 0, v12
	v_lshlrev_b32_e32 v16, v16, v40
	v_or_b32_e32 v38, 0x1000, v12
	v_lshl_or_b32 v39, v27, 12, v12
	v_lshrrev_b32_e32 v42, v20, v32
	v_cndmask_b32_e64 v12, 0, 1, vcc_lo
	v_lshlrev_b32_e32 v18, v18, v41
	v_cmp_ne_u32_e32 vcc_lo, v16, v28
	v_lshrrev_b32_e32 v43, v22, v34
	v_lshlrev_b32_e32 v20, v20, v42
	v_lshrrev_b32_e32 v44, v24, v36
	v_lshrrev_b32_e32 v45, v26, v38
	v_cndmask_b32_e64 v16, 0, 1, vcc_lo
	v_cmp_ne_u32_e32 vcc_lo, v18, v30
	v_lshlrev_b32_e32 v22, v22, v43
	v_lshlrev_b32_e32 v24, v24, v44
	;; [unrolled: 1-line block ×3, first 2 shown]
	v_or_b32_e32 v16, v40, v16
	v_cndmask_b32_e64 v18, 0, 1, vcc_lo
	v_cmp_ne_u32_e32 vcc_lo, v20, v32
	v_lshl_or_b32 v2, v2, 9, 0x7c00
	v_lshl_or_b32 v4, v4, 9, 0x7c00
	;; [unrolled: 1-line block ×3, first 2 shown]
	v_or_b32_e32 v18, v41, v18
	v_cndmask_b32_e64 v20, 0, 1, vcc_lo
	v_cmp_ne_u32_e32 vcc_lo, v22, v34
	v_lshl_or_b32 v8, v8, 9, 0x7c00
	v_lshl_or_b32 v10, v10, 9, 0x7c00
	v_lshrrev_b32_e32 v3, 16, v3
	v_or_b32_e32 v20, v42, v20
	v_cndmask_b32_e64 v22, 0, 1, vcc_lo
	v_cmp_ne_u32_e32 vcc_lo, v24, v36
	v_lshrrev_b32_e32 v7, 16, v7
	v_lshrrev_b32_e32 v5, 16, v5
	;; [unrolled: 1-line block ×3, first 2 shown]
	v_or_b32_e32 v22, v43, v22
	v_cndmask_b32_e64 v24, 0, 1, vcc_lo
	v_cmp_ne_u32_e32 vcc_lo, v26, v38
	v_lshl_or_b32 v12, v12, 9, 0x7c00
	v_lshrrev_b32_e32 v9, 16, v9
	v_lshrrev_b32_e32 v13, 16, v13
	v_or_b32_e32 v24, v44, v24
	v_cndmask_b32_e64 v26, 0, 1, vcc_lo
	v_cmp_gt_i32_e32 vcc_lo, 1, v17
	v_or_b32_e32 v26, v45, v26
	v_cndmask_b32_e32 v16, v29, v16, vcc_lo
	v_cmp_gt_i32_e32 vcc_lo, 1, v19
	v_and_b32_e32 v28, 7, v16
	v_cndmask_b32_e32 v18, v31, v18, vcc_lo
	v_cmp_gt_i32_e32 vcc_lo, 1, v21
	v_lshrrev_b32_e32 v16, 2, v16
	v_cmp_eq_u32_e64 s0, 3, v28
	v_and_b32_e32 v29, 7, v18
	v_cndmask_b32_e32 v20, v33, v20, vcc_lo
	v_cmp_gt_i32_e32 vcc_lo, 1, v23
	v_lshrrev_b32_e32 v18, 2, v18
	v_cmp_lt_i32_e64 s1, 5, v29
	v_and_b32_e32 v30, 7, v20
	v_cndmask_b32_e32 v22, v35, v22, vcc_lo
	v_cmp_gt_i32_e32 vcc_lo, 1, v25
	v_cmp_eq_u32_e64 s2, 3, v29
	v_lshrrev_b32_e32 v20, 2, v20
	v_cmp_lt_i32_e64 s3, 5, v30
	v_and_b32_e32 v31, 7, v22
	v_cndmask_b32_e32 v24, v37, v24, vcc_lo
	v_cmp_gt_i32_e32 vcc_lo, 1, v27
	v_cmp_eq_u32_e64 s4, 3, v30
	v_lshrrev_b32_e32 v22, 2, v22
	v_cmp_lt_i32_e64 s5, 5, v31
	v_and_b32_e32 v32, 7, v24
	v_cndmask_b32_e32 v26, v39, v26, vcc_lo
	v_cmp_lt_i32_e32 vcc_lo, 5, v28
	v_cmp_eq_u32_e64 s6, 3, v31
	v_lshrrev_b32_e32 v24, 2, v24
	v_cmp_lt_i32_e64 s7, 5, v32
	v_and_b32_e32 v33, 7, v26
	s_or_b32 vcc_lo, s0, vcc_lo
	v_cmp_eq_u32_e64 s8, 3, v32
	v_add_co_ci_u32_e32 v16, vcc_lo, 0, v16, vcc_lo
	s_or_b32 vcc_lo, s2, s1
	v_cmp_lt_i32_e64 s9, 5, v33
	v_add_co_ci_u32_e32 v18, vcc_lo, 0, v18, vcc_lo
	s_or_b32 vcc_lo, s4, s3
	v_cmp_eq_u32_e64 s10, 3, v33
	v_add_co_ci_u32_e32 v20, vcc_lo, 0, v20, vcc_lo
	s_or_b32 vcc_lo, s6, s5
	v_lshrrev_b32_e32 v26, 2, v26
	v_add_co_ci_u32_e32 v22, vcc_lo, 0, v22, vcc_lo
	s_or_b32 vcc_lo, s8, s7
	v_add_co_ci_u32_e32 v24, vcc_lo, 0, v24, vcc_lo
	s_or_b32 vcc_lo, s10, s9
	v_add_co_ci_u32_e32 v26, vcc_lo, 0, v26, vcc_lo
	v_cmp_gt_i32_e32 vcc_lo, 31, v17
	v_cndmask_b32_e32 v16, 0x7c00, v16, vcc_lo
	v_cmp_gt_i32_e32 vcc_lo, 31, v19
	v_cndmask_b32_e32 v18, 0x7c00, v18, vcc_lo
	;; [unrolled: 2-line block ×6, first 2 shown]
	v_cmp_eq_u32_e32 vcc_lo, 0x40f, v17
	v_cndmask_b32_e32 v2, v16, v2, vcc_lo
	v_cmp_eq_u32_e32 vcc_lo, 0x40f, v19
	v_and_or_b32 v2, 0x8000, v3, v2
	v_cndmask_b32_e32 v4, v18, v4, vcc_lo
	v_cmp_eq_u32_e32 vcc_lo, 0x40f, v21
	v_and_or_b32 v4, 0x8000, v5, v4
	v_cndmask_b32_e32 v6, v20, v6, vcc_lo
	v_cmp_eq_u32_e32 vcc_lo, 0x40f, v23
	v_and_or_b32 v3, 0x8000, v7, v6
	v_cndmask_b32_e32 v8, v22, v8, vcc_lo
	v_cmp_eq_u32_e32 vcc_lo, 0x40f, v25
	v_and_or_b32 v6, 0x8000, v9, v8
	v_cndmask_b32_e32 v10, v24, v10, vcc_lo
	v_cmp_eq_u32_e32 vcc_lo, 0x40f, v27
	v_and_b32_e32 v8, 0xffff, v2
	v_and_b32_e32 v9, 0xffff, v3
	v_and_or_b32 v5, 0x8000, v11, v10
	v_cndmask_b32_e32 v12, v26, v12, vcc_lo
	v_add_co_u32 v2, vcc_lo, v14, s12
	v_lshl_or_b32 v4, v4, 16, v8
	v_and_b32_e32 v5, 0xffff, v5
	v_and_or_b32 v7, 0x8000, v13, v12
	v_lshl_or_b32 v6, v6, 16, v9
	v_add_co_ci_u32_e32 v3, vcc_lo, s13, v15, vcc_lo
	v_lshl_or_b32 v5, v7, 16, v5
	global_store_dword v[0:1], v4, off
	global_store_dword v[14:15], v6, off
	;; [unrolled: 1-line block ×3, first 2 shown]
.LBB0_31:
	s_endpgm
	.section	.rodata,"a",@progbits
	.p2align	6, 0x0
	.amdhsa_kernel bluestein_single_fwd_len1287_dim1_half_op_CI_CI
		.amdhsa_group_segment_fixed_size 5148
		.amdhsa_private_segment_fixed_size 0
		.amdhsa_kernarg_size 104
		.amdhsa_user_sgpr_count 6
		.amdhsa_user_sgpr_private_segment_buffer 1
		.amdhsa_user_sgpr_dispatch_ptr 0
		.amdhsa_user_sgpr_queue_ptr 0
		.amdhsa_user_sgpr_kernarg_segment_ptr 1
		.amdhsa_user_sgpr_dispatch_id 0
		.amdhsa_user_sgpr_flat_scratch_init 0
		.amdhsa_user_sgpr_private_segment_size 0
		.amdhsa_wavefront_size32 1
		.amdhsa_uses_dynamic_stack 0
		.amdhsa_system_sgpr_private_segment_wavefront_offset 0
		.amdhsa_system_sgpr_workgroup_id_x 1
		.amdhsa_system_sgpr_workgroup_id_y 0
		.amdhsa_system_sgpr_workgroup_id_z 0
		.amdhsa_system_sgpr_workgroup_info 0
		.amdhsa_system_vgpr_workitem_id 0
		.amdhsa_next_free_vgpr 196
		.amdhsa_next_free_sgpr 16
		.amdhsa_reserve_vcc 1
		.amdhsa_reserve_flat_scratch 0
		.amdhsa_float_round_mode_32 0
		.amdhsa_float_round_mode_16_64 0
		.amdhsa_float_denorm_mode_32 3
		.amdhsa_float_denorm_mode_16_64 3
		.amdhsa_dx10_clamp 1
		.amdhsa_ieee_mode 1
		.amdhsa_fp16_overflow 0
		.amdhsa_workgroup_processor_mode 1
		.amdhsa_memory_ordered 1
		.amdhsa_forward_progress 0
		.amdhsa_shared_vgpr_count 0
		.amdhsa_exception_fp_ieee_invalid_op 0
		.amdhsa_exception_fp_denorm_src 0
		.amdhsa_exception_fp_ieee_div_zero 0
		.amdhsa_exception_fp_ieee_overflow 0
		.amdhsa_exception_fp_ieee_underflow 0
		.amdhsa_exception_fp_ieee_inexact 0
		.amdhsa_exception_int_div_zero 0
	.end_amdhsa_kernel
	.text
.Lfunc_end0:
	.size	bluestein_single_fwd_len1287_dim1_half_op_CI_CI, .Lfunc_end0-bluestein_single_fwd_len1287_dim1_half_op_CI_CI
                                        ; -- End function
	.section	.AMDGPU.csdata,"",@progbits
; Kernel info:
; codeLenInByte = 25928
; NumSgprs: 18
; NumVgprs: 196
; ScratchSize: 0
; MemoryBound: 0
; FloatMode: 240
; IeeeMode: 1
; LDSByteSize: 5148 bytes/workgroup (compile time only)
; SGPRBlocks: 2
; VGPRBlocks: 24
; NumSGPRsForWavesPerEU: 18
; NumVGPRsForWavesPerEU: 196
; Occupancy: 4
; WaveLimiterHint : 1
; COMPUTE_PGM_RSRC2:SCRATCH_EN: 0
; COMPUTE_PGM_RSRC2:USER_SGPR: 6
; COMPUTE_PGM_RSRC2:TRAP_HANDLER: 0
; COMPUTE_PGM_RSRC2:TGID_X_EN: 1
; COMPUTE_PGM_RSRC2:TGID_Y_EN: 0
; COMPUTE_PGM_RSRC2:TGID_Z_EN: 0
; COMPUTE_PGM_RSRC2:TIDIG_COMP_CNT: 0
	.text
	.p2alignl 6, 3214868480
	.fill 48, 4, 3214868480
	.type	__hip_cuid_10439588ac229c48,@object ; @__hip_cuid_10439588ac229c48
	.section	.bss,"aw",@nobits
	.globl	__hip_cuid_10439588ac229c48
__hip_cuid_10439588ac229c48:
	.byte	0                               ; 0x0
	.size	__hip_cuid_10439588ac229c48, 1

	.ident	"AMD clang version 19.0.0git (https://github.com/RadeonOpenCompute/llvm-project roc-6.4.0 25133 c7fe45cf4b819c5991fe208aaa96edf142730f1d)"
	.section	".note.GNU-stack","",@progbits
	.addrsig
	.addrsig_sym __hip_cuid_10439588ac229c48
	.amdgpu_metadata
---
amdhsa.kernels:
  - .args:
      - .actual_access:  read_only
        .address_space:  global
        .offset:         0
        .size:           8
        .value_kind:     global_buffer
      - .actual_access:  read_only
        .address_space:  global
        .offset:         8
        .size:           8
        .value_kind:     global_buffer
      - .actual_access:  read_only
        .address_space:  global
        .offset:         16
        .size:           8
        .value_kind:     global_buffer
      - .actual_access:  read_only
        .address_space:  global
        .offset:         24
        .size:           8
        .value_kind:     global_buffer
      - .actual_access:  read_only
        .address_space:  global
        .offset:         32
        .size:           8
        .value_kind:     global_buffer
      - .offset:         40
        .size:           8
        .value_kind:     by_value
      - .address_space:  global
        .offset:         48
        .size:           8
        .value_kind:     global_buffer
      - .address_space:  global
        .offset:         56
        .size:           8
        .value_kind:     global_buffer
      - .address_space:  global
        .offset:         64
        .size:           8
        .value_kind:     global_buffer
      - .address_space:  global
        .offset:         72
        .size:           8
        .value_kind:     global_buffer
      - .offset:         80
        .size:           4
        .value_kind:     by_value
      - .address_space:  global
        .offset:         88
        .size:           8
        .value_kind:     global_buffer
      - .address_space:  global
        .offset:         96
        .size:           8
        .value_kind:     global_buffer
    .group_segment_fixed_size: 5148
    .kernarg_segment_align: 8
    .kernarg_segment_size: 104
    .language:       OpenCL C
    .language_version:
      - 2
      - 0
    .max_flat_workgroup_size: 117
    .name:           bluestein_single_fwd_len1287_dim1_half_op_CI_CI
    .private_segment_fixed_size: 0
    .sgpr_count:     18
    .sgpr_spill_count: 0
    .symbol:         bluestein_single_fwd_len1287_dim1_half_op_CI_CI.kd
    .uniform_work_group_size: 1
    .uses_dynamic_stack: false
    .vgpr_count:     196
    .vgpr_spill_count: 0
    .wavefront_size: 32
    .workgroup_processor_mode: 1
amdhsa.target:   amdgcn-amd-amdhsa--gfx1030
amdhsa.version:
  - 1
  - 2
...

	.end_amdgpu_metadata
